;; amdgpu-corpus repo=ROCm/rocFFT kind=compiled arch=gfx906 opt=O3
	.text
	.amdgcn_target "amdgcn-amd-amdhsa--gfx906"
	.amdhsa_code_object_version 6
	.protected	fft_rtc_back_len1815_factors_11_3_5_11_wgs_165_tpt_165_dp_ip_CI_sbrr_dirReg ; -- Begin function fft_rtc_back_len1815_factors_11_3_5_11_wgs_165_tpt_165_dp_ip_CI_sbrr_dirReg
	.globl	fft_rtc_back_len1815_factors_11_3_5_11_wgs_165_tpt_165_dp_ip_CI_sbrr_dirReg
	.p2align	8
	.type	fft_rtc_back_len1815_factors_11_3_5_11_wgs_165_tpt_165_dp_ip_CI_sbrr_dirReg,@function
fft_rtc_back_len1815_factors_11_3_5_11_wgs_165_tpt_165_dp_ip_CI_sbrr_dirReg: ; @fft_rtc_back_len1815_factors_11_3_5_11_wgs_165_tpt_165_dp_ip_CI_sbrr_dirReg
; %bb.0:
	s_load_dwordx2 s[14:15], s[4:5], 0x18
	s_load_dwordx4 s[8:11], s[4:5], 0x0
	s_load_dwordx2 s[12:13], s[4:5], 0x50
	v_mul_u32_u24_e32 v1, 0x18e, v0
	v_add_u32_sdwa v5, s6, v1 dst_sel:DWORD dst_unused:UNUSED_PAD src0_sel:DWORD src1_sel:WORD_1
	s_waitcnt lgkmcnt(0)
	s_load_dwordx2 s[2:3], s[14:15], 0x0
	v_cmp_lt_u64_e64 s[0:1], s[10:11], 2
	v_mov_b32_e32 v3, 0
	v_mov_b32_e32 v1, 0
	;; [unrolled: 1-line block ×3, first 2 shown]
	s_and_b64 vcc, exec, s[0:1]
	v_mov_b32_e32 v2, 0
	s_cbranch_vccnz .LBB0_8
; %bb.1:
	s_load_dwordx2 s[0:1], s[4:5], 0x10
	s_add_u32 s6, s14, 8
	s_addc_u32 s7, s15, 0
	v_mov_b32_e32 v1, 0
	v_mov_b32_e32 v2, 0
	s_waitcnt lgkmcnt(0)
	s_add_u32 s16, s0, 8
	s_addc_u32 s17, s1, 0
	s_mov_b64 s[18:19], 1
.LBB0_2:                                ; =>This Inner Loop Header: Depth=1
	s_load_dwordx2 s[20:21], s[16:17], 0x0
                                        ; implicit-def: $vgpr7_vgpr8
	s_waitcnt lgkmcnt(0)
	v_or_b32_e32 v4, s21, v6
	v_cmp_ne_u64_e32 vcc, 0, v[3:4]
	s_and_saveexec_b64 s[0:1], vcc
	s_xor_b64 s[22:23], exec, s[0:1]
	s_cbranch_execz .LBB0_4
; %bb.3:                                ;   in Loop: Header=BB0_2 Depth=1
	v_cvt_f32_u32_e32 v4, s20
	v_cvt_f32_u32_e32 v7, s21
	s_sub_u32 s0, 0, s20
	s_subb_u32 s1, 0, s21
	v_mac_f32_e32 v4, 0x4f800000, v7
	v_rcp_f32_e32 v4, v4
	v_mul_f32_e32 v4, 0x5f7ffffc, v4
	v_mul_f32_e32 v7, 0x2f800000, v4
	v_trunc_f32_e32 v7, v7
	v_mac_f32_e32 v4, 0xcf800000, v7
	v_cvt_u32_f32_e32 v7, v7
	v_cvt_u32_f32_e32 v4, v4
	v_mul_lo_u32 v8, s0, v7
	v_mul_hi_u32 v9, s0, v4
	v_mul_lo_u32 v11, s1, v4
	v_mul_lo_u32 v10, s0, v4
	v_add_u32_e32 v8, v9, v8
	v_add_u32_e32 v8, v8, v11
	v_mul_hi_u32 v9, v4, v10
	v_mul_lo_u32 v11, v4, v8
	v_mul_hi_u32 v13, v4, v8
	v_mul_hi_u32 v12, v7, v10
	v_mul_lo_u32 v10, v7, v10
	v_mul_hi_u32 v14, v7, v8
	v_add_co_u32_e32 v9, vcc, v9, v11
	v_addc_co_u32_e32 v11, vcc, 0, v13, vcc
	v_mul_lo_u32 v8, v7, v8
	v_add_co_u32_e32 v9, vcc, v9, v10
	v_addc_co_u32_e32 v9, vcc, v11, v12, vcc
	v_addc_co_u32_e32 v10, vcc, 0, v14, vcc
	v_add_co_u32_e32 v8, vcc, v9, v8
	v_addc_co_u32_e32 v9, vcc, 0, v10, vcc
	v_add_co_u32_e32 v4, vcc, v4, v8
	v_addc_co_u32_e32 v7, vcc, v7, v9, vcc
	v_mul_lo_u32 v8, s0, v7
	v_mul_hi_u32 v9, s0, v4
	v_mul_lo_u32 v10, s1, v4
	v_mul_lo_u32 v11, s0, v4
	v_add_u32_e32 v8, v9, v8
	v_add_u32_e32 v8, v8, v10
	v_mul_lo_u32 v12, v4, v8
	v_mul_hi_u32 v13, v4, v11
	v_mul_hi_u32 v14, v4, v8
	;; [unrolled: 1-line block ×3, first 2 shown]
	v_mul_lo_u32 v11, v7, v11
	v_mul_hi_u32 v9, v7, v8
	v_add_co_u32_e32 v12, vcc, v13, v12
	v_addc_co_u32_e32 v13, vcc, 0, v14, vcc
	v_mul_lo_u32 v8, v7, v8
	v_add_co_u32_e32 v11, vcc, v12, v11
	v_addc_co_u32_e32 v10, vcc, v13, v10, vcc
	v_addc_co_u32_e32 v9, vcc, 0, v9, vcc
	v_add_co_u32_e32 v8, vcc, v10, v8
	v_addc_co_u32_e32 v9, vcc, 0, v9, vcc
	v_add_co_u32_e32 v4, vcc, v4, v8
	v_addc_co_u32_e32 v9, vcc, v7, v9, vcc
	v_mad_u64_u32 v[7:8], s[0:1], v5, v9, 0
	v_mul_hi_u32 v10, v5, v4
	v_add_co_u32_e32 v11, vcc, v10, v7
	v_addc_co_u32_e32 v12, vcc, 0, v8, vcc
	v_mad_u64_u32 v[7:8], s[0:1], v6, v4, 0
	v_mad_u64_u32 v[9:10], s[0:1], v6, v9, 0
	v_add_co_u32_e32 v4, vcc, v11, v7
	v_addc_co_u32_e32 v4, vcc, v12, v8, vcc
	v_addc_co_u32_e32 v7, vcc, 0, v10, vcc
	v_add_co_u32_e32 v4, vcc, v4, v9
	v_addc_co_u32_e32 v9, vcc, 0, v7, vcc
	v_mul_lo_u32 v10, s21, v4
	v_mul_lo_u32 v11, s20, v9
	v_mad_u64_u32 v[7:8], s[0:1], s20, v4, 0
	v_add3_u32 v8, v8, v11, v10
	v_sub_u32_e32 v10, v6, v8
	v_mov_b32_e32 v11, s21
	v_sub_co_u32_e32 v7, vcc, v5, v7
	v_subb_co_u32_e64 v10, s[0:1], v10, v11, vcc
	v_subrev_co_u32_e64 v11, s[0:1], s20, v7
	v_subbrev_co_u32_e64 v10, s[0:1], 0, v10, s[0:1]
	v_cmp_le_u32_e64 s[0:1], s21, v10
	v_cndmask_b32_e64 v12, 0, -1, s[0:1]
	v_cmp_le_u32_e64 s[0:1], s20, v11
	v_cndmask_b32_e64 v11, 0, -1, s[0:1]
	v_cmp_eq_u32_e64 s[0:1], s21, v10
	v_cndmask_b32_e64 v10, v12, v11, s[0:1]
	v_add_co_u32_e64 v11, s[0:1], 2, v4
	v_addc_co_u32_e64 v12, s[0:1], 0, v9, s[0:1]
	v_add_co_u32_e64 v13, s[0:1], 1, v4
	v_addc_co_u32_e64 v14, s[0:1], 0, v9, s[0:1]
	v_subb_co_u32_e32 v8, vcc, v6, v8, vcc
	v_cmp_ne_u32_e64 s[0:1], 0, v10
	v_cmp_le_u32_e32 vcc, s21, v8
	v_cndmask_b32_e64 v10, v14, v12, s[0:1]
	v_cndmask_b32_e64 v12, 0, -1, vcc
	v_cmp_le_u32_e32 vcc, s20, v7
	v_cndmask_b32_e64 v7, 0, -1, vcc
	v_cmp_eq_u32_e32 vcc, s21, v8
	v_cndmask_b32_e32 v7, v12, v7, vcc
	v_cmp_ne_u32_e32 vcc, 0, v7
	v_cndmask_b32_e64 v7, v13, v11, s[0:1]
	v_cndmask_b32_e32 v8, v9, v10, vcc
	v_cndmask_b32_e32 v7, v4, v7, vcc
.LBB0_4:                                ;   in Loop: Header=BB0_2 Depth=1
	s_andn2_saveexec_b64 s[0:1], s[22:23]
	s_cbranch_execz .LBB0_6
; %bb.5:                                ;   in Loop: Header=BB0_2 Depth=1
	v_cvt_f32_u32_e32 v4, s20
	s_sub_i32 s22, 0, s20
	v_rcp_iflag_f32_e32 v4, v4
	v_mul_f32_e32 v4, 0x4f7ffffe, v4
	v_cvt_u32_f32_e32 v4, v4
	v_mul_lo_u32 v7, s22, v4
	v_mul_hi_u32 v7, v4, v7
	v_add_u32_e32 v4, v4, v7
	v_mul_hi_u32 v4, v5, v4
	v_mul_lo_u32 v7, v4, s20
	v_add_u32_e32 v8, 1, v4
	v_sub_u32_e32 v7, v5, v7
	v_subrev_u32_e32 v9, s20, v7
	v_cmp_le_u32_e32 vcc, s20, v7
	v_cndmask_b32_e32 v7, v7, v9, vcc
	v_cndmask_b32_e32 v4, v4, v8, vcc
	v_add_u32_e32 v8, 1, v4
	v_cmp_le_u32_e32 vcc, s20, v7
	v_cndmask_b32_e32 v7, v4, v8, vcc
	v_mov_b32_e32 v8, v3
.LBB0_6:                                ;   in Loop: Header=BB0_2 Depth=1
	s_or_b64 exec, exec, s[0:1]
	v_mul_lo_u32 v4, v8, s20
	v_mul_lo_u32 v11, v7, s21
	v_mad_u64_u32 v[9:10], s[0:1], v7, s20, 0
	s_load_dwordx2 s[0:1], s[6:7], 0x0
	s_add_u32 s18, s18, 1
	v_add3_u32 v4, v10, v11, v4
	v_sub_co_u32_e32 v5, vcc, v5, v9
	v_subb_co_u32_e32 v4, vcc, v6, v4, vcc
	s_waitcnt lgkmcnt(0)
	v_mul_lo_u32 v4, s0, v4
	v_mul_lo_u32 v6, s1, v5
	v_mad_u64_u32 v[1:2], s[0:1], s0, v5, v[1:2]
	s_addc_u32 s19, s19, 0
	s_add_u32 s6, s6, 8
	v_add3_u32 v2, v6, v2, v4
	v_mov_b32_e32 v4, s10
	v_mov_b32_e32 v5, s11
	s_addc_u32 s7, s7, 0
	v_cmp_ge_u64_e32 vcc, s[18:19], v[4:5]
	s_add_u32 s16, s16, 8
	s_addc_u32 s17, s17, 0
	s_cbranch_vccnz .LBB0_9
; %bb.7:                                ;   in Loop: Header=BB0_2 Depth=1
	v_mov_b32_e32 v5, v7
	v_mov_b32_e32 v6, v8
	s_branch .LBB0_2
.LBB0_8:
	v_mov_b32_e32 v8, v6
	v_mov_b32_e32 v7, v5
.LBB0_9:
	s_lshl_b64 s[0:1], s[10:11], 3
	s_add_u32 s0, s14, s0
	s_addc_u32 s1, s15, s1
	s_load_dwordx2 s[6:7], s[0:1], 0x0
	s_load_dwordx2 s[10:11], s[4:5], 0x20
                                        ; implicit-def: $vgpr64
                                        ; implicit-def: $vgpr63
                                        ; implicit-def: $vgpr48
	s_waitcnt lgkmcnt(0)
	v_mad_u64_u32 v[1:2], s[0:1], s6, v7, v[1:2]
	s_mov_b32 s0, 0x18d3019
	v_mul_lo_u32 v3, s6, v8
	v_mul_lo_u32 v4, s7, v7
	v_mul_hi_u32 v5, v0, s0
	v_cmp_gt_u64_e32 vcc, s[10:11], v[7:8]
	v_cmp_le_u64_e64 s[0:1], s[10:11], v[7:8]
	v_add3_u32 v2, v4, v2, v3
	v_mul_u32_u24_e32 v3, 0xa5, v5
	v_sub_u32_e32 v62, v0, v3
                                        ; implicit-def: $sgpr6
	s_and_saveexec_b64 s[4:5], s[0:1]
	s_xor_b64 s[0:1], exec, s[4:5]
; %bb.10:
	v_add_u32_e32 v64, 0xa5, v62
	v_add_u32_e32 v63, 0x14a, v62
	;; [unrolled: 1-line block ×3, first 2 shown]
	s_mov_b32 s6, 0
; %bb.11:
	s_or_saveexec_b64 s[4:5], s[0:1]
	v_lshlrev_b64 v[60:61], 4, v[1:2]
	v_mov_b32_e32 v102, s6
                                        ; implicit-def: $vgpr6_vgpr7
                                        ; implicit-def: $vgpr10_vgpr11
                                        ; implicit-def: $vgpr14_vgpr15
                                        ; implicit-def: $vgpr18_vgpr19
                                        ; implicit-def: $vgpr22_vgpr23
                                        ; implicit-def: $vgpr26_vgpr27
                                        ; implicit-def: $vgpr34_vgpr35
                                        ; implicit-def: $vgpr38_vgpr39
                                        ; implicit-def: $vgpr30_vgpr31
                                        ; implicit-def: $vgpr42_vgpr43
                                        ; implicit-def: $vgpr2_vgpr3
	s_xor_b64 exec, exec, s[4:5]
	s_cbranch_execz .LBB0_13
; %bb.12:
	v_mad_u64_u32 v[0:1], s[0:1], s2, v62, 0
	v_add_u32_e32 v64, 0xa5, v62
	v_mov_b32_e32 v4, s13
	v_mad_u64_u32 v[1:2], s[0:1], s3, v62, v[1:2]
	v_mad_u64_u32 v[2:3], s[0:1], s2, v64, 0
	v_add_co_u32_e64 v8, s[0:1], s12, v60
	v_addc_co_u32_e64 v9, s[0:1], v4, v61, s[0:1]
	v_mad_u64_u32 v[3:4], s[0:1], s3, v64, v[3:4]
	v_add_u32_e32 v63, 0x14a, v62
	v_mad_u64_u32 v[4:5], s[0:1], s2, v63, 0
	v_lshlrev_b64 v[0:1], 4, v[0:1]
	v_add_u32_e32 v48, 0x1ef, v62
	v_add_co_u32_e64 v44, s[0:1], v8, v0
	v_addc_co_u32_e64 v45, s[0:1], v9, v1, s[0:1]
	v_lshlrev_b64 v[0:1], 4, v[2:3]
	v_mov_b32_e32 v2, v5
	v_mad_u64_u32 v[2:3], s[0:1], s3, v63, v[2:3]
	v_mad_u64_u32 v[6:7], s[0:1], s2, v48, 0
	v_add_co_u32_e64 v46, s[0:1], v8, v0
	v_mov_b32_e32 v5, v2
	v_mov_b32_e32 v2, v7
	v_addc_co_u32_e64 v47, s[0:1], v9, v1, s[0:1]
	v_lshlrev_b64 v[0:1], 4, v[4:5]
	v_mad_u64_u32 v[2:3], s[0:1], s3, v48, v[2:3]
	v_add_u32_e32 v5, 0x294, v62
	v_mad_u64_u32 v[3:4], s[0:1], s2, v5, 0
	v_add_co_u32_e64 v49, s[0:1], v8, v0
	v_mov_b32_e32 v7, v2
	v_mov_b32_e32 v2, v4
	v_addc_co_u32_e64 v50, s[0:1], v9, v1, s[0:1]
	v_lshlrev_b64 v[0:1], 4, v[6:7]
	v_mad_u64_u32 v[4:5], s[0:1], s3, v5, v[2:3]
	v_add_u32_e32 v7, 0x339, v62
	v_mad_u64_u32 v[5:6], s[0:1], s2, v7, 0
	v_add_co_u32_e64 v51, s[0:1], v8, v0
	v_mov_b32_e32 v2, v6
	v_addc_co_u32_e64 v52, s[0:1], v9, v1, s[0:1]
	v_lshlrev_b64 v[0:1], 4, v[3:4]
	v_mad_u64_u32 v[2:3], s[0:1], s3, v7, v[2:3]
	v_add_u32_e32 v7, 0x3de, v62
	v_mad_u64_u32 v[3:4], s[0:1], s2, v7, 0
	v_add_co_u32_e64 v53, s[0:1], v8, v0
	v_mov_b32_e32 v6, v2
	v_mov_b32_e32 v2, v4
	v_addc_co_u32_e64 v54, s[0:1], v9, v1, s[0:1]
	v_lshlrev_b64 v[0:1], 4, v[5:6]
	v_mad_u64_u32 v[4:5], s[0:1], s3, v7, v[2:3]
	v_add_u32_e32 v7, 0x483, v62
	v_mad_u64_u32 v[5:6], s[0:1], s2, v7, 0
	v_add_co_u32_e64 v55, s[0:1], v8, v0
	;; [unrolled: 15-line block ×3, first 2 shown]
	v_mov_b32_e32 v2, v6
	v_addc_co_u32_e64 v66, s[0:1], v9, v1, s[0:1]
	v_lshlrev_b64 v[0:1], 4, v[3:4]
	v_mad_u64_u32 v[2:3], s[0:1], s3, v7, v[2:3]
	v_add_u32_e32 v7, 0x672, v62
	v_mad_u64_u32 v[3:4], s[0:1], s2, v7, 0
	v_add_co_u32_e64 v67, s[0:1], v8, v0
	v_mov_b32_e32 v6, v2
	v_mov_b32_e32 v2, v4
	v_addc_co_u32_e64 v68, s[0:1], v9, v1, s[0:1]
	v_lshlrev_b64 v[0:1], 4, v[5:6]
	v_mad_u64_u32 v[4:5], s[0:1], s3, v7, v[2:3]
	v_add_co_u32_e64 v69, s[0:1], v8, v0
	v_addc_co_u32_e64 v70, s[0:1], v9, v1, s[0:1]
	v_lshlrev_b64 v[0:1], 4, v[3:4]
	v_mov_b32_e32 v102, v62
	v_add_co_u32_e64 v71, s[0:1], v8, v0
	v_addc_co_u32_e64 v72, s[0:1], v9, v1, s[0:1]
	global_load_dwordx4 v[0:3], v[44:45], off
	global_load_dwordx4 v[40:43], v[46:47], off
	;; [unrolled: 1-line block ×11, first 2 shown]
.LBB0_13:
	s_or_b64 exec, exec, s[4:5]
	s_waitcnt vmcnt(9)
	v_add_f64 v[44:45], v[40:41], v[0:1]
	v_add_f64 v[46:47], v[42:43], v[2:3]
	s_waitcnt vmcnt(3)
	v_add_f64 v[65:66], v[16:17], v[32:33]
	v_add_f64 v[67:68], v[18:19], v[34:35]
	v_add_f64 v[69:70], v[32:33], -v[16:17]
	v_add_f64 v[71:72], v[34:35], -v[18:19]
	v_add_f64 v[51:52], v[20:21], v[24:25]
	v_add_f64 v[53:54], v[22:23], v[26:27]
	;; [unrolled: 1-line block ×4, first 2 shown]
	v_add_f64 v[55:56], v[24:25], -v[20:21]
	v_add_f64 v[57:58], v[26:27], -v[22:23]
	s_waitcnt vmcnt(0)
	v_add_f64 v[49:50], v[4:5], v[40:41]
	v_add_f64 v[73:74], v[6:7], v[42:43]
	v_add_f64 v[40:41], v[40:41], -v[4:5]
	v_add_f64 v[42:43], v[42:43], -v[6:7]
	v_add_f64 v[44:45], v[36:37], v[44:45]
	v_add_f64 v[46:47], v[38:39], v[46:47]
	;; [unrolled: 1-line block ×4, first 2 shown]
	v_add_f64 v[36:37], v[36:37], -v[12:13]
	v_add_f64 v[38:39], v[38:39], -v[14:15]
	s_mov_b32 s22, 0xf8bb580b
	s_mov_b32 s6, 0x43842ef
	v_add_f64 v[32:33], v[32:33], v[44:45]
	v_add_f64 v[34:35], v[34:35], v[46:47]
	s_mov_b32 s20, 0xbb3a28a1
	s_mov_b32 s24, 0xfd768dbf
	;; [unrolled: 1-line block ×6, first 2 shown]
	v_add_f64 v[24:25], v[24:25], v[32:33]
	v_add_f64 v[26:27], v[26:27], v[34:35]
	s_mov_b32 s21, 0xbfe82f19
	s_mov_b32 s25, 0xbfd207e7
	v_add_f64 v[44:45], v[8:9], v[28:29]
	v_add_f64 v[46:47], v[10:11], v[30:31]
	v_add_f64 v[28:29], v[28:29], -v[8:9]
	v_add_f64 v[30:31], v[30:31], -v[10:11]
	v_add_f64 v[20:21], v[20:21], v[24:25]
	v_add_f64 v[22:23], v[22:23], v[26:27]
	v_mul_f64 v[24:25], v[42:43], s[24:25]
	v_mul_f64 v[26:27], v[40:41], s[22:23]
	s_mov_b32 s16, 0x8764f0ba
	s_mov_b32 s4, 0xd9c712b6
	;; [unrolled: 1-line block ×4, first 2 shown]
	v_add_f64 v[16:17], v[16:17], v[20:21]
	v_add_f64 v[18:19], v[18:19], v[22:23]
	v_mul_f64 v[20:21], v[42:43], s[22:23]
	v_mul_f64 v[22:23], v[42:43], s[20:21]
	s_mov_b32 s14, 0x9bcd5057
	s_mov_b32 s17, 0x3feaeb8c
	;; [unrolled: 1-line block ×4, first 2 shown]
	v_add_f64 v[12:13], v[12:13], v[16:17]
	v_add_f64 v[14:15], v[14:15], v[18:19]
	v_mul_f64 v[16:17], v[42:43], s[10:11]
	v_mul_f64 v[18:19], v[42:43], s[6:7]
	s_mov_b32 s19, 0xbfe4f49e
	s_mov_b32 s15, 0xbfeeb42a
	v_fma_f64 v[32:33], v[49:50], s[16:17], v[20:21]
	v_fma_f64 v[34:35], v[49:50], s[18:19], v[22:23]
	v_add_f64 v[8:9], v[8:9], v[12:13]
	v_add_f64 v[10:11], v[10:11], v[14:15]
	v_fma_f64 v[12:13], v[49:50], s[16:17], -v[20:21]
	v_fma_f64 v[14:15], v[49:50], s[4:5], v[16:17]
	v_fma_f64 v[16:17], v[49:50], s[4:5], -v[16:17]
	v_fma_f64 v[20:21], v[49:50], s[0:1], v[18:19]
	v_fma_f64 v[18:19], v[49:50], s[0:1], -v[18:19]
	v_mul_f64 v[42:43], v[40:41], s[6:7]
	v_add_f64 v[4:5], v[4:5], v[8:9]
	v_add_f64 v[6:7], v[6:7], v[10:11]
	v_fma_f64 v[8:9], v[49:50], s[18:19], -v[22:23]
	v_mul_f64 v[10:11], v[40:41], s[10:11]
	v_fma_f64 v[22:23], v[49:50], s[14:15], v[24:25]
	v_fma_f64 v[24:25], v[49:50], s[14:15], -v[24:25]
	v_mul_f64 v[49:50], v[40:41], s[20:21]
	v_mul_f64 v[40:41], v[40:41], s[24:25]
	v_fma_f64 v[79:80], v[73:74], s[16:17], -v[26:27]
	v_fma_f64 v[26:27], v[73:74], s[16:17], v[26:27]
	v_fma_f64 v[83:84], v[73:74], s[0:1], -v[42:43]
	v_fma_f64 v[81:82], v[73:74], s[4:5], -v[10:11]
	v_fma_f64 v[10:11], v[73:74], s[4:5], v[10:11]
	v_fma_f64 v[42:43], v[73:74], s[0:1], v[42:43]
	v_fma_f64 v[85:86], v[73:74], s[18:19], -v[49:50]
	v_fma_f64 v[49:50], v[73:74], s[18:19], v[49:50]
	v_fma_f64 v[87:88], v[73:74], s[14:15], -v[40:41]
	v_fma_f64 v[40:41], v[73:74], s[14:15], v[40:41]
	v_add_f64 v[73:74], v[2:3], v[79:80]
	v_mul_f64 v[79:80], v[30:31], s[10:11]
	v_mul_f64 v[89:90], v[28:29], s[10:11]
	v_add_f64 v[32:33], v[0:1], v[32:33]
	v_add_f64 v[91:92], v[0:1], v[14:15]
	v_mul_f64 v[95:96], v[38:39], s[6:7]
	v_mul_f64 v[97:98], v[36:37], s[6:7]
	v_add_f64 v[99:100], v[0:1], v[18:19]
	v_mul_f64 v[103:104], v[69:70], s[20:21]
	v_fma_f64 v[14:15], v[44:45], s[4:5], v[79:80]
	v_fma_f64 v[93:94], v[46:47], s[4:5], -v[89:90]
	v_add_f64 v[12:13], v[0:1], v[12:13]
	v_add_f64 v[105:106], v[0:1], v[8:9]
	v_mul_f64 v[107:108], v[55:56], s[24:25]
	v_fma_f64 v[79:80], v[44:45], s[4:5], -v[79:80]
	v_add_f64 v[26:27], v[2:3], v[26:27]
	v_fma_f64 v[89:90], v[46:47], s[4:5], v[89:90]
	v_add_f64 v[14:15], v[14:15], v[32:33]
	v_add_f64 v[18:19], v[93:94], v[73:74]
	v_fma_f64 v[32:33], v[75:76], s[0:1], v[95:96]
	v_fma_f64 v[73:74], v[77:78], s[0:1], -v[97:98]
	v_mul_f64 v[93:94], v[71:72], s[20:21]
	v_add_f64 v[109:110], v[0:1], v[22:23]
	v_fma_f64 v[22:23], v[53:54], s[14:15], -v[107:108]
	s_mov_b32 s31, 0x3fd207e7
	s_mov_b32 s30, s24
	v_add_f64 v[16:17], v[0:1], v[16:17]
	v_add_f64 v[8:9], v[32:33], v[14:15]
	;; [unrolled: 1-line block ×3, first 2 shown]
	v_fma_f64 v[18:19], v[65:66], s[18:19], v[93:94]
	v_fma_f64 v[32:33], v[67:68], s[18:19], -v[103:104]
	v_mul_f64 v[73:74], v[57:58], s[24:25]
	v_add_f64 v[20:21], v[0:1], v[20:21]
	v_add_f64 v[34:35], v[0:1], v[34:35]
	;; [unrolled: 1-line block ×3, first 2 shown]
	v_fma_f64 v[89:90], v[77:78], s[0:1], v[97:98]
	v_mul_f64 v[97:98], v[28:29], s[20:21]
	v_add_f64 v[8:9], v[18:19], v[8:9]
	v_add_f64 v[14:15], v[32:33], v[14:15]
	v_fma_f64 v[18:19], v[51:52], s[14:15], v[73:74]
	v_add_f64 v[32:33], v[79:80], v[12:13]
	v_fma_f64 v[79:80], v[75:76], s[0:1], -v[95:96]
	v_add_f64 v[95:96], v[0:1], v[24:25]
	v_mul_f64 v[24:25], v[30:31], s[20:21]
	v_add_f64 v[81:82], v[2:3], v[81:82]
	v_add_f64 v[10:11], v[2:3], v[10:11]
	;; [unrolled: 1-line block ×4, first 2 shown]
	v_fma_f64 v[8:9], v[65:66], s[18:19], -v[93:94]
	v_add_f64 v[0:1], v[79:80], v[32:33]
	v_mul_f64 v[32:33], v[38:39], s[30:31]
	v_fma_f64 v[22:23], v[44:45], s[18:19], v[24:25]
	v_add_f64 v[83:84], v[2:3], v[83:84]
	v_add_f64 v[42:43], v[2:3], v[42:43]
	;; [unrolled: 1-line block ×7, first 2 shown]
	v_fma_f64 v[18:19], v[67:68], s[18:19], v[103:104]
	v_fma_f64 v[26:27], v[46:47], s[18:19], -v[97:98]
	v_mul_f64 v[79:80], v[36:37], s[30:31]
	v_add_f64 v[0:1], v[8:9], v[0:1]
	v_fma_f64 v[8:9], v[51:52], s[14:15], -v[73:74]
	v_add_f64 v[22:23], v[22:23], v[91:92]
	v_fma_f64 v[73:74], v[75:76], s[14:15], v[32:33]
	s_mov_b32 s29, 0x3fefac9e
	s_mov_b32 s28, s6
	v_add_f64 v[2:3], v[18:19], v[2:3]
	v_fma_f64 v[18:19], v[53:54], s[14:15], v[107:108]
	v_add_f64 v[26:27], v[26:27], v[81:82]
	v_fma_f64 v[81:82], v[77:78], s[14:15], -v[79:80]
	v_mul_f64 v[89:90], v[71:72], s[28:29]
	v_mul_f64 v[91:92], v[69:70], s[28:29]
	v_add_f64 v[0:1], v[8:9], v[0:1]
	v_add_f64 v[8:9], v[73:74], v[22:23]
	v_fma_f64 v[22:23], v[44:45], s[18:19], -v[24:25]
	v_fma_f64 v[24:25], v[46:47], s[18:19], v[97:98]
	s_mov_b32 s27, 0x3fe14ced
	s_mov_b32 s26, s22
	v_add_f64 v[2:3], v[18:19], v[2:3]
	v_add_f64 v[18:19], v[81:82], v[26:27]
	v_fma_f64 v[26:27], v[65:66], s[0:1], v[89:90]
	v_fma_f64 v[73:74], v[67:68], s[0:1], -v[91:92]
	v_mul_f64 v[81:82], v[57:58], s[26:27]
	v_add_f64 v[16:17], v[22:23], v[16:17]
	v_add_f64 v[10:11], v[24:25], v[10:11]
	v_fma_f64 v[22:23], v[75:76], s[14:15], -v[32:33]
	v_fma_f64 v[24:25], v[77:78], s[14:15], v[79:80]
	v_mul_f64 v[32:33], v[28:29], s[30:31]
	s_mov_b32 s11, 0x3fed1bb4
	v_add_f64 v[8:9], v[26:27], v[8:9]
	v_add_f64 v[18:19], v[73:74], v[18:19]
	v_fma_f64 v[73:74], v[51:52], s[16:17], v[81:82]
	v_mul_f64 v[107:108], v[36:37], s[10:11]
	v_add_f64 v[22:23], v[22:23], v[16:17]
	v_add_f64 v[10:11], v[24:25], v[10:11]
	v_fma_f64 v[24:25], v[65:66], s[0:1], -v[89:90]
	v_fma_f64 v[97:98], v[46:47], s[14:15], -v[32:33]
	v_mul_f64 v[93:94], v[55:56], s[26:27]
	v_mul_f64 v[26:27], v[30:31], s[30:31]
	v_fma_f64 v[89:90], v[67:68], s[0:1], v[91:92]
	v_add_f64 v[16:17], v[73:74], v[8:9]
	v_fma_f64 v[73:74], v[77:78], s[4:5], -v[107:108]
	v_mul_f64 v[103:104], v[38:39], s[10:11]
	v_add_f64 v[8:9], v[24:25], v[22:23]
	v_add_f64 v[22:23], v[97:98], v[83:84]
	v_mul_f64 v[83:84], v[69:70], s[22:23]
	v_fma_f64 v[79:80], v[53:54], s[16:17], -v[93:94]
	v_fma_f64 v[91:92], v[44:45], s[14:15], v[26:27]
	v_add_f64 v[10:11], v[89:90], v[10:11]
	v_fma_f64 v[81:82], v[51:52], s[16:17], -v[81:82]
	v_fma_f64 v[89:90], v[53:54], s[16:17], v[93:94]
	v_fma_f64 v[26:27], v[44:45], s[14:15], -v[26:27]
	v_fma_f64 v[32:33], v[46:47], s[14:15], v[32:33]
	v_add_f64 v[22:23], v[73:74], v[22:23]
	v_fma_f64 v[73:74], v[67:68], s[16:17], -v[83:84]
	v_add_f64 v[18:19], v[79:80], v[18:19]
	v_add_f64 v[20:21], v[91:92], v[20:21]
	v_fma_f64 v[24:25], v[75:76], s[4:5], v[103:104]
	v_mul_f64 v[79:80], v[71:72], s[22:23]
	v_add_f64 v[8:9], v[81:82], v[8:9]
	v_add_f64 v[10:11], v[89:90], v[10:11]
	;; [unrolled: 1-line block ×4, first 2 shown]
	v_fma_f64 v[42:43], v[75:76], s[4:5], -v[103:104]
	v_fma_f64 v[81:82], v[77:78], s[4:5], v[107:108]
	v_add_f64 v[22:23], v[73:74], v[22:23]
	v_mul_f64 v[73:74], v[30:31], s[28:29]
	v_mul_f64 v[89:90], v[28:29], s[28:29]
	v_add_f64 v[20:21], v[24:25], v[20:21]
	v_fma_f64 v[24:25], v[65:66], s[16:17], v[79:80]
	v_mul_f64 v[93:94], v[38:39], s[22:23]
	v_add_f64 v[26:27], v[42:43], v[26:27]
	v_add_f64 v[32:33], v[81:82], v[32:33]
	v_fma_f64 v[42:43], v[65:66], s[16:17], -v[79:80]
	v_fma_f64 v[79:80], v[67:68], s[16:17], v[83:84]
	v_fma_f64 v[81:82], v[44:45], s[0:1], v[73:74]
	v_fma_f64 v[83:84], v[46:47], s[0:1], -v[89:90]
	v_add_f64 v[20:21], v[24:25], v[20:21]
	v_mul_f64 v[24:25], v[57:58], s[20:21]
	v_mul_f64 v[91:92], v[55:56], s[20:21]
	;; [unrolled: 1-line block ×3, first 2 shown]
	v_add_f64 v[26:27], v[42:43], v[26:27]
	v_add_f64 v[32:33], v[79:80], v[32:33]
	;; [unrolled: 1-line block ×4, first 2 shown]
	v_fma_f64 v[79:80], v[75:76], s[16:17], v[93:94]
	v_mul_f64 v[83:84], v[71:72], s[24:25]
	v_fma_f64 v[99:100], v[51:52], s[18:19], v[24:25]
	v_fma_f64 v[103:104], v[53:54], s[18:19], -v[91:92]
	v_mul_f64 v[28:29], v[28:29], s[26:27]
	v_mul_f64 v[97:98], v[36:37], s[22:23]
	v_fma_f64 v[73:74], v[44:45], s[0:1], -v[73:74]
	v_mul_f64 v[38:39], v[38:39], s[20:21]
	v_add_f64 v[34:35], v[79:80], v[34:35]
	v_fma_f64 v[79:80], v[65:66], s[14:15], v[83:84]
	v_add_f64 v[20:21], v[99:100], v[20:21]
	v_add_f64 v[22:23], v[103:104], v[22:23]
	v_fma_f64 v[99:100], v[44:45], s[16:17], v[30:31]
	v_fma_f64 v[103:104], v[46:47], s[16:17], -v[28:29]
	v_fma_f64 v[30:31], v[44:45], s[16:17], -v[30:31]
	v_fma_f64 v[28:29], v[46:47], s[16:17], v[28:29]
	v_mul_f64 v[36:37], v[36:37], s[20:21]
	v_add_f64 v[34:35], v[79:80], v[34:35]
	v_fma_f64 v[79:80], v[46:47], s[0:1], v[89:90]
	v_fma_f64 v[81:82], v[77:78], s[16:17], -v[97:98]
	v_mul_f64 v[85:86], v[69:70], s[24:25]
	v_fma_f64 v[24:25], v[51:52], s[18:19], -v[24:25]
	v_fma_f64 v[91:92], v[53:54], s[18:19], v[91:92]
	v_add_f64 v[44:45], v[73:74], v[105:106]
	v_add_f64 v[73:74], v[103:104], v[87:88]
	;; [unrolled: 1-line block ×5, first 2 shown]
	v_fma_f64 v[79:80], v[75:76], s[16:17], -v[93:94]
	v_add_f64 v[28:29], v[28:29], v[40:41]
	v_fma_f64 v[40:41], v[75:76], s[18:19], v[38:39]
	v_fma_f64 v[93:94], v[77:78], s[18:19], -v[36:37]
	v_fma_f64 v[38:39], v[75:76], s[18:19], -v[38:39]
	v_fma_f64 v[36:37], v[77:78], s[18:19], v[36:37]
	v_mul_f64 v[71:72], v[71:72], s[10:11]
	v_mul_f64 v[69:70], v[69:70], s[10:11]
	v_fma_f64 v[87:88], v[77:78], s[16:17], v[97:98]
	v_add_f64 v[42:43], v[81:82], v[42:43]
	v_fma_f64 v[81:82], v[67:68], s[14:15], -v[85:86]
	v_add_f64 v[24:25], v[24:25], v[26:27]
	v_add_f64 v[26:27], v[91:92], v[32:33]
	v_mul_f64 v[32:33], v[57:58], s[10:11]
	v_mul_f64 v[91:92], v[55:56], s[10:11]
	v_add_f64 v[40:41], v[40:41], v[49:50]
	v_add_f64 v[49:50], v[93:94], v[73:74]
	v_fma_f64 v[75:76], v[67:68], s[14:15], v[85:86]
	v_add_f64 v[30:31], v[38:39], v[30:31]
	v_add_f64 v[28:29], v[36:37], v[28:29]
	v_fma_f64 v[36:37], v[65:66], s[4:5], v[71:72]
	v_fma_f64 v[38:39], v[67:68], s[4:5], -v[69:70]
	v_fma_f64 v[67:68], v[67:68], s[4:5], v[69:70]
	v_mul_f64 v[57:58], v[57:58], s[6:7]
	v_mul_f64 v[55:56], v[55:56], s[6:7]
	v_add_f64 v[44:45], v[79:80], v[44:45]
	v_fma_f64 v[73:74], v[65:66], s[14:15], -v[83:84]
	v_fma_f64 v[65:66], v[65:66], s[4:5], -v[71:72]
	v_add_f64 v[46:47], v[87:88], v[46:47]
	v_add_f64 v[42:43], v[81:82], v[42:43]
	v_fma_f64 v[81:82], v[51:52], s[4:5], v[32:33]
	v_fma_f64 v[89:90], v[53:54], s[4:5], -v[91:92]
	v_add_f64 v[36:37], v[36:37], v[40:41]
	v_add_f64 v[38:39], v[38:39], v[49:50]
	;; [unrolled: 1-line block ×3, first 2 shown]
	v_fma_f64 v[67:68], v[51:52], s[0:1], v[57:58]
	v_fma_f64 v[69:70], v[53:54], s[0:1], -v[55:56]
	v_add_f64 v[44:45], v[73:74], v[44:45]
	v_add_f64 v[40:41], v[65:66], v[30:31]
	v_fma_f64 v[32:33], v[51:52], s[4:5], -v[32:33]
	v_fma_f64 v[65:66], v[53:54], s[4:5], v[91:92]
	v_fma_f64 v[51:52], v[51:52], s[0:1], -v[57:58]
	v_fma_f64 v[53:54], v[53:54], s[0:1], v[55:56]
	v_add_f64 v[46:47], v[75:76], v[46:47]
	v_add_f64 v[28:29], v[81:82], v[34:35]
	;; [unrolled: 1-line block ×5, first 2 shown]
	s_movk_i32 s0, 0xb0
	v_add_f64 v[32:33], v[32:33], v[44:45]
	v_add_f64 v[40:41], v[51:52], v[40:41]
	;; [unrolled: 1-line block ×3, first 2 shown]
	v_mad_u32_u24 v44, v62, s0, 0
	s_movk_i32 s0, 0xff60
	v_add_f64 v[34:35], v[65:66], v[46:47]
	v_mad_i32_i24 v65, v62, s0, v44
	v_lshl_add_u32 v67, v63, 4, 0
	ds_write_b128 v44, v[4:7]
	ds_write_b128 v44, v[12:15] offset:16
	ds_write_b128 v44, v[16:19] offset:32
	ds_write_b128 v44, v[20:23] offset:48
	ds_write_b128 v44, v[28:31] offset:64
	ds_write_b128 v44, v[36:39] offset:80
	ds_write_b128 v44, v[40:43] offset:96
	ds_write_b128 v44, v[32:35] offset:112
	ds_write_b128 v44, v[24:27] offset:128
	ds_write_b128 v44, v[8:11] offset:144
	ds_write_b128 v44, v[0:3] offset:160
	s_waitcnt lgkmcnt(0)
	s_barrier
	ds_read_b128 v[4:7], v65
	ds_read_b128 v[20:23], v65 offset:9680
	v_lshl_add_u32 v66, v64, 4, 0
	ds_read_b128 v[24:27], v65 offset:19360
	ds_read_b128 v[28:31], v65 offset:22000
	ds_read_b128 v[12:15], v67
	ds_read_b128 v[40:43], v65 offset:12320
	ds_read_b128 v[32:35], v65 offset:14960
	ds_read_b128 v[16:19], v66
	ds_read_b128 v[36:39], v65 offset:24640
	s_movk_i32 s0, 0x6e
	v_cmp_gt_u32_e64 s[0:1], s0, v62
	v_lshl_add_u32 v68, v48, 4, 0
                                        ; implicit-def: $vgpr46_vgpr47
	s_and_saveexec_b64 s[4:5], s[0:1]
	s_cbranch_execz .LBB0_15
; %bb.14:
	ds_read_b128 v[8:11], v68
	ds_read_b128 v[0:3], v65 offset:17600
	ds_read_b128 v[44:47], v65 offset:27280
.LBB0_15:
	s_or_b64 exec, exec, s[4:5]
	s_movk_i32 s4, 0x75
	v_mul_lo_u16_sdwa v49, v62, s4 dst_sel:DWORD dst_unused:UNUSED_PAD src0_sel:BYTE_0 src1_sel:DWORD
	v_sub_u16_sdwa v50, v62, v49 dst_sel:DWORD dst_unused:UNUSED_PAD src0_sel:DWORD src1_sel:BYTE_1
	v_lshrrev_b16_e32 v50, 1, v50
	v_and_b32_e32 v50, 0x7f, v50
	v_add_u16_sdwa v49, v50, v49 dst_sel:DWORD dst_unused:UNUSED_PAD src0_sel:DWORD src1_sel:BYTE_1
	s_mov_b32 s4, 0xba2f
	v_lshrrev_b16_e32 v101, 3, v49
	v_mul_u32_u24_sdwa v49, v64, s4 dst_sel:DWORD dst_unused:UNUSED_PAD src0_sel:WORD_0 src1_sel:DWORD
	v_lshrrev_b32_e32 v109, 19, v49
	v_mul_lo_u16_e32 v49, 11, v109
	v_sub_u16_e32 v110, v64, v49
	v_lshlrev_b32_e32 v49, 5, v110
	global_load_dwordx4 v[50:53], v49, s[8:9] offset:16
	global_load_dwordx4 v[54:57], v49, s[8:9]
	v_mul_u32_u24_sdwa v49, v63, s4 dst_sel:DWORD dst_unused:UNUSED_PAD src0_sel:WORD_0 src1_sel:DWORD
	v_lshrrev_b32_e32 v111, 19, v49
	v_mul_lo_u16_e32 v49, 11, v111
	v_sub_u16_e32 v112, v63, v49
	v_lshlrev_b32_e32 v49, 5, v112
	global_load_dwordx4 v[69:72], v49, s[8:9] offset:16
	global_load_dwordx4 v[73:76], v49, s[8:9]
	v_mul_u32_u24_sdwa v49, v48, s4 dst_sel:DWORD dst_unused:UNUSED_PAD src0_sel:WORD_0 src1_sel:DWORD
	v_lshrrev_b32_e32 v49, 19, v49
	v_mul_lo_u16_e32 v58, 11, v101
	v_mul_lo_u16_e32 v59, 11, v49
	v_sub_u16_e32 v48, v48, v59
	v_sub_u16_e32 v113, v62, v58
	v_mov_b32_e32 v58, 5
	v_lshlrev_b32_e32 v59, 5, v48
	v_lshlrev_b32_sdwa v58, v58, v113 dst_sel:DWORD dst_unused:UNUSED_PAD src0_sel:DWORD src1_sel:BYTE_0
	global_load_dwordx4 v[77:80], v59, s[8:9] offset:16
	global_load_dwordx4 v[81:84], v59, s[8:9]
	global_load_dwordx4 v[85:88], v58, s[8:9]
	global_load_dwordx4 v[89:92], v58, s[8:9] offset:16
	s_mov_b32 s4, 0xe8584caa
	s_mov_b32 s5, 0xbfebb67a
	;; [unrolled: 1-line block ×4, first 2 shown]
	s_waitcnt vmcnt(0) lgkmcnt(0)
	s_barrier
	v_mul_f64 v[93:94], v[30:31], v[52:53]
	v_mul_f64 v[58:59], v[42:43], v[56:57]
	;; [unrolled: 1-line block ×8, first 2 shown]
	v_fma_f64 v[40:41], v[40:41], v[54:55], v[58:59]
	v_fma_f64 v[42:43], v[42:43], v[54:55], -v[56:57]
	v_fma_f64 v[54:55], v[28:29], v[50:51], v[93:94]
	v_fma_f64 v[50:51], v[30:31], v[50:51], -v[52:53]
	v_fma_f64 v[36:37], v[36:37], v[69:70], v[97:98]
	v_fma_f64 v[52:53], v[32:33], v[73:74], v[95:96]
	v_mul_f64 v[103:104], v[46:47], v[79:80]
	v_mul_f64 v[99:100], v[2:3], v[83:84]
	;; [unrolled: 1-line block ×8, first 2 shown]
	v_fma_f64 v[56:57], v[34:35], v[73:74], -v[75:76]
	v_fma_f64 v[38:39], v[38:39], v[69:70], -v[71:72]
	v_fma_f64 v[28:29], v[0:1], v[81:82], v[99:100]
	v_fma_f64 v[34:35], v[2:3], v[81:82], -v[83:84]
	v_fma_f64 v[0:1], v[20:21], v[85:86], v[105:106]
	;; [unrolled: 2-line block ×4, first 2 shown]
	v_fma_f64 v[32:33], v[46:47], v[77:78], -v[79:80]
	v_add_f64 v[22:23], v[40:41], v[54:55]
	v_add_f64 v[44:45], v[42:43], -v[50:51]
	v_add_f64 v[46:47], v[18:19], v[42:43]
	v_add_f64 v[42:43], v[42:43], v[50:51]
	;; [unrolled: 1-line block ×4, first 2 shown]
	v_add_f64 v[71:72], v[56:57], -v[38:39]
	v_add_f64 v[73:74], v[14:15], v[56:57]
	v_add_f64 v[56:57], v[56:57], v[38:39]
	;; [unrolled: 1-line block ×3, first 2 shown]
	v_add_f64 v[87:88], v[2:3], -v[26:27]
	v_add_f64 v[89:90], v[6:7], v[2:3]
	v_add_f64 v[2:3], v[2:3], v[26:27]
	;; [unrolled: 1-line block ×6, first 2 shown]
	v_add_f64 v[40:41], v[40:41], -v[54:55]
	v_add_f64 v[52:53], v[52:53], -v[36:37]
	;; [unrolled: 1-line block ×3, first 2 shown]
	v_fma_f64 v[0:1], v[22:23], -0.5, v[16:17]
	v_add_f64 v[22:23], v[46:47], v[50:51]
	v_fma_f64 v[42:43], v[42:43], -0.5, v[18:19]
	v_add_f64 v[16:17], v[58:59], v[36:37]
	v_fma_f64 v[46:47], v[69:70], -0.5, v[12:13]
	v_fma_f64 v[50:51], v[56:57], -0.5, v[14:15]
	;; [unrolled: 1-line block ×4, first 2 shown]
	v_add_f64 v[77:78], v[34:35], -v[32:33]
	v_add_f64 v[81:82], v[28:29], -v[30:31]
	v_add_f64 v[20:21], v[20:21], v[54:55]
	v_fma_f64 v[54:55], v[75:76], -0.5, v[8:9]
	v_fma_f64 v[56:57], v[79:80], -0.5, v[10:11]
	v_add_f64 v[12:13], v[83:84], v[24:25]
	v_add_f64 v[14:15], v[89:90], v[26:27]
	;; [unrolled: 1-line block ×3, first 2 shown]
	v_fma_f64 v[24:25], v[44:45], s[4:5], v[0:1]
	v_fma_f64 v[36:37], v[44:45], s[6:7], v[0:1]
	;; [unrolled: 1-line block ×16, first 2 shown]
	v_mov_b32_e32 v59, 4
	v_mul_u32_u24_e32 v58, 0x210, v101
	v_lshlrev_b32_sdwa v59, v59, v113 dst_sel:DWORD dst_unused:UNUSED_PAD src0_sel:DWORD src1_sel:BYTE_0
	v_add3_u32 v58, 0, v58, v59
	ds_write_b128 v58, v[12:15]
	ds_write_b128 v58, v[50:53] offset:176
	ds_write_b128 v58, v[54:57] offset:352
	v_mul_u32_u24_e32 v12, 0x210, v109
	v_lshlrev_b32_e32 v13, 4, v110
	v_add3_u32 v12, 0, v12, v13
	ds_write_b128 v12, v[20:23]
	ds_write_b128 v12, v[24:27] offset:176
	ds_write_b128 v12, v[36:39] offset:352
	v_mul_u32_u24_e32 v12, 0x210, v111
	v_lshlrev_b32_e32 v13, 4, v112
	v_add3_u32 v12, 0, v12, v13
	ds_write_b128 v12, v[16:19]
	ds_write_b128 v12, v[40:43] offset:176
	ds_write_b128 v12, v[44:47] offset:352
	s_and_saveexec_b64 s[4:5], s[0:1]
	s_cbranch_execz .LBB0_17
; %bb.16:
	v_add_f64 v[10:11], v[10:11], v[34:35]
	v_add_f64 v[8:9], v[8:9], v[28:29]
	v_mul_lo_u16_e32 v12, 33, v49
	v_lshlrev_b32_e32 v13, 4, v48
	v_lshlrev_b32_e32 v12, 4, v12
	v_add3_u32 v12, 0, v13, v12
	v_add_f64 v[10:11], v[10:11], v[32:33]
	v_add_f64 v[8:9], v[8:9], v[30:31]
	ds_write_b128 v12, v[0:3] offset:176
	ds_write_b128 v12, v[8:11]
	ds_write_b128 v12, v[4:7] offset:352
.LBB0_17:
	s_or_b64 exec, exec, s[4:5]
	s_waitcnt lgkmcnt(0)
	s_barrier
	ds_read_b128 v[24:27], v65
	ds_read_b128 v[48:51], v65 offset:5808
	ds_read_b128 v[44:47], v65 offset:11616
	;; [unrolled: 1-line block ×7, first 2 shown]
	ds_read_b128 v[20:23], v66
	ds_read_b128 v[40:43], v65 offset:25872
	v_cmp_gt_u32_e64 s[0:1], 33, v62
                                        ; implicit-def: $vgpr18_vgpr19
                                        ; implicit-def: $vgpr14_vgpr15
                                        ; implicit-def: $vgpr10_vgpr11
	s_and_saveexec_b64 s[4:5], s[0:1]
	s_cbranch_execz .LBB0_19
; %bb.18:
	ds_read_b128 v[0:3], v67
	ds_read_b128 v[4:7], v65 offset:11088
	ds_read_b128 v[8:11], v65 offset:16896
	ds_read_b128 v[12:15], v65 offset:22704
	ds_read_b128 v[16:19], v65 offset:28512
.LBB0_19:
	s_or_b64 exec, exec, s[4:5]
	s_movk_i32 s4, 0xf9
	v_mul_lo_u16_sdwa v69, v62, s4 dst_sel:DWORD dst_unused:UNUSED_PAD src0_sel:BYTE_0 src1_sel:DWORD
	v_lshrrev_b16_e32 v101, 13, v69
	v_mul_lo_u16_e32 v69, 33, v101
	v_sub_u16_e32 v119, v62, v69
	v_mov_b32_e32 v69, 6
	v_lshlrev_b32_sdwa v85, v69, v119 dst_sel:DWORD dst_unused:UNUSED_PAD src0_sel:DWORD src1_sel:BYTE_0
	global_load_dwordx4 v[69:72], v85, s[8:9] offset:368
	global_load_dwordx4 v[73:76], v85, s[8:9] offset:352
	global_load_dwordx4 v[77:80], v85, s[8:9] offset:400
	global_load_dwordx4 v[81:84], v85, s[8:9] offset:384
	s_mov_b32 s20, 0xf83f
	v_mul_u32_u24_sdwa v85, v64, s20 dst_sel:DWORD dst_unused:UNUSED_PAD src0_sel:WORD_0 src1_sel:DWORD
	v_lshrrev_b32_e32 v120, 21, v85
	v_mul_lo_u16_e32 v85, 33, v120
	v_sub_u16_e32 v64, v64, v85
	v_lshlrev_b32_e32 v103, 6, v64
	global_load_dwordx4 v[85:88], v103, s[8:9] offset:352
	global_load_dwordx4 v[89:92], v103, s[8:9] offset:368
	;; [unrolled: 1-line block ×4, first 2 shown]
	s_mov_b32 s10, 0x134454ff
	s_mov_b32 s11, 0xbfee6f0e
	s_mov_b32 s17, 0x3fee6f0e
	s_mov_b32 s16, s10
	s_mov_b32 s6, 0x4755a5e
	s_mov_b32 s7, 0xbfe2cf23
	s_mov_b32 s15, 0x3fe2cf23
	s_mov_b32 s14, s6
	s_mov_b32 s4, 0x372fe950
	s_mov_b32 s5, 0x3fd3c6ef
	s_waitcnt vmcnt(0) lgkmcnt(0)
	s_barrier
	v_mul_f64 v[105:106], v[46:47], v[71:72]
	v_mul_f64 v[103:104], v[50:51], v[75:76]
	;; [unrolled: 1-line block ×16, first 2 shown]
	v_fma_f64 v[48:49], v[48:49], v[73:74], v[103:104]
	v_fma_f64 v[50:51], v[50:51], v[73:74], -v[75:76]
	v_fma_f64 v[44:45], v[44:45], v[69:70], v[105:106]
	v_fma_f64 v[46:47], v[46:47], v[69:70], -v[71:72]
	;; [unrolled: 2-line block ×4, first 2 shown]
	v_fma_f64 v[69:70], v[28:29], v[85:86], v[111:112]
	v_fma_f64 v[73:74], v[32:33], v[89:90], v[113:114]
	;; [unrolled: 1-line block ×3, first 2 shown]
	v_fma_f64 v[71:72], v[30:31], v[85:86], -v[87:88]
	v_fma_f64 v[75:76], v[34:35], v[89:90], -v[91:92]
	;; [unrolled: 1-line block ×3, first 2 shown]
	v_fma_f64 v[81:82], v[40:41], v[97:98], v[117:118]
	v_fma_f64 v[83:84], v[42:43], v[97:98], -v[99:100]
	v_add_f64 v[28:29], v[24:25], v[48:49]
	v_add_f64 v[30:31], v[44:45], v[52:53]
	v_add_f64 v[36:37], v[48:49], -v[44:45]
	v_add_f64 v[38:39], v[56:57], -v[52:53]
	v_add_f64 v[40:41], v[48:49], v[56:57]
	v_add_f64 v[42:43], v[44:45], -v[48:49]
	v_add_f64 v[85:86], v[52:53], -v[56:57]
	v_add_f64 v[87:88], v[26:27], v[50:51]
	v_add_f64 v[89:90], v[46:47], v[54:55]
	;; [unrolled: 1-line block ×3, first 2 shown]
	v_add_f64 v[32:33], v[50:51], -v[58:59]
	v_add_f64 v[93:94], v[50:51], -v[46:47]
	;; [unrolled: 1-line block ×4, first 2 shown]
	v_add_f64 v[103:104], v[20:21], v[69:70]
	v_add_f64 v[105:106], v[73:74], v[77:78]
	v_add_f64 v[34:35], v[46:47], -v[54:55]
	v_add_f64 v[48:49], v[48:49], -v[56:57]
	;; [unrolled: 1-line block ×4, first 2 shown]
	v_add_f64 v[115:116], v[69:70], v[81:82]
	v_add_f64 v[28:29], v[28:29], v[44:45]
	v_fma_f64 v[30:31], v[30:31], -0.5, v[24:25]
	v_add_f64 v[36:37], v[36:37], v[38:39]
	v_fma_f64 v[24:25], v[40:41], -0.5, v[24:25]
	v_add_f64 v[38:39], v[42:43], v[85:86]
	v_add_f64 v[40:41], v[87:88], v[46:47]
	v_fma_f64 v[42:43], v[89:90], -0.5, v[26:27]
	v_fma_f64 v[26:27], v[97:98], -0.5, v[26:27]
	v_add_f64 v[107:108], v[71:72], -v[83:84]
	v_add_f64 v[46:47], v[50:51], v[99:100]
	v_add_f64 v[50:51], v[103:104], v[73:74]
	v_fma_f64 v[85:86], v[105:106], -0.5, v[20:21]
	v_add_f64 v[44:45], v[93:94], v[95:96]
	v_fma_f64 v[89:90], v[115:116], -0.5, v[20:21]
	v_add_f64 v[20:21], v[28:29], v[52:53]
	v_fma_f64 v[28:29], v[32:33], s[10:11], v[30:31]
	v_fma_f64 v[30:31], v[32:33], s[16:17], v[30:31]
	;; [unrolled: 1-line block ×4, first 2 shown]
	v_add_f64 v[40:41], v[40:41], v[54:55]
	v_fma_f64 v[54:55], v[48:49], s[16:17], v[42:43]
	v_fma_f64 v[42:43], v[48:49], s[10:11], v[42:43]
	v_fma_f64 v[95:96], v[91:92], s[10:11], v[26:27]
	v_fma_f64 v[97:98], v[91:92], s[16:17], v[26:27]
	v_add_f64 v[109:110], v[75:76], -v[79:80]
	v_add_f64 v[111:112], v[69:70], -v[73:74]
	;; [unrolled: 1-line block ×3, first 2 shown]
	v_add_f64 v[50:51], v[50:51], v[77:78]
	v_fma_f64 v[99:100], v[107:108], s[10:11], v[85:86]
	v_add_f64 v[24:25], v[20:21], v[56:57]
	v_fma_f64 v[28:29], v[34:35], s[6:7], v[28:29]
	v_fma_f64 v[30:31], v[34:35], s[14:15], v[30:31]
	;; [unrolled: 1-line block ×7, first 2 shown]
	v_add_f64 v[87:88], v[111:112], v[113:114]
	v_fma_f64 v[54:55], v[91:92], s[14:15], v[54:55]
	v_add_f64 v[20:21], v[50:51], v[81:82]
	v_fma_f64 v[50:51], v[109:110], s[6:7], v[99:100]
	v_add_f64 v[117:118], v[75:76], v[79:80]
	v_add_f64 v[26:27], v[40:41], v[58:59]
	v_fma_f64 v[28:29], v[36:37], s[4:5], v[28:29]
	v_fma_f64 v[32:33], v[36:37], s[4:5], v[30:31]
	;; [unrolled: 1-line block ×7, first 2 shown]
	v_add_f64 v[52:53], v[71:72], v[83:84]
	v_fma_f64 v[30:31], v[44:45], s[4:5], v[54:55]
	v_fma_f64 v[38:39], v[46:47], s[4:5], v[56:57]
	;; [unrolled: 1-line block ×3, first 2 shown]
	v_add_f64 v[50:51], v[73:74], -v[69:70]
	v_add_f64 v[54:55], v[77:78], -v[81:82]
	v_add_f64 v[56:57], v[22:23], v[71:72]
	v_fma_f64 v[58:59], v[117:118], -0.5, v[22:23]
	v_add_f64 v[69:70], v[69:70], -v[81:82]
	v_fma_f64 v[81:82], v[107:108], s[6:7], v[48:49]
	v_add_f64 v[48:49], v[73:74], -v[77:78]
	v_fma_f64 v[22:23], v[52:53], -0.5, v[22:23]
	v_fma_f64 v[46:47], v[107:108], s[16:17], v[85:86]
	v_add_f64 v[50:51], v[50:51], v[54:55]
	v_add_f64 v[54:55], v[56:57], v[75:76]
	v_add_f64 v[73:74], v[71:72], -v[75:76]
	v_fma_f64 v[56:57], v[69:70], s[16:17], v[58:59]
	v_add_f64 v[77:78], v[83:84], -v[79:80]
	v_add_f64 v[71:72], v[75:76], -v[71:72]
	v_fma_f64 v[85:86], v[48:49], s[10:11], v[22:23]
	v_add_f64 v[75:76], v[79:80], -v[83:84]
	v_fma_f64 v[52:53], v[109:110], s[10:11], v[89:90]
	v_fma_f64 v[58:59], v[69:70], s[10:11], v[58:59]
	;; [unrolled: 1-line block ×3, first 2 shown]
	v_add_f64 v[54:55], v[54:55], v[79:80]
	v_fma_f64 v[46:47], v[109:110], s[14:15], v[46:47]
	v_fma_f64 v[79:80], v[48:49], s[14:15], v[56:57]
	v_add_f64 v[73:74], v[73:74], v[77:78]
	v_fma_f64 v[77:78], v[69:70], s[14:15], v[85:86]
	v_add_f64 v[71:72], v[71:72], v[75:76]
	v_fma_f64 v[89:90], v[107:108], s[14:15], v[52:53]
	v_fma_f64 v[58:59], v[48:49], s[6:7], v[58:59]
	;; [unrolled: 1-line block ×3, first 2 shown]
	v_add_f64 v[22:23], v[54:55], v[83:84]
	v_fma_f64 v[48:49], v[87:88], s[4:5], v[46:47]
	v_fma_f64 v[46:47], v[73:74], s[4:5], v[79:80]
	;; [unrolled: 1-line block ×7, first 2 shown]
	v_mov_b32_e32 v70, 4
	v_mul_u32_u24_e32 v69, 0xa50, v101
	v_lshlrev_b32_sdwa v70, v70, v119 dst_sel:DWORD dst_unused:UNUSED_PAD src0_sel:DWORD src1_sel:BYTE_0
	v_add3_u32 v69, 0, v69, v70
	ds_write_b128 v69, v[24:27]
	ds_write_b128 v69, v[28:31] offset:528
	ds_write_b128 v69, v[36:39] offset:1056
	;; [unrolled: 1-line block ×4, first 2 shown]
	v_mul_u32_u24_e32 v24, 0xa50, v120
	v_lshlrev_b32_e32 v25, 4, v64
	v_add3_u32 v24, 0, v24, v25
	ds_write_b128 v24, v[20:23]
	ds_write_b128 v24, v[44:47] offset:528
	ds_write_b128 v24, v[52:55] offset:1056
	;; [unrolled: 1-line block ×4, first 2 shown]
	s_and_saveexec_b64 s[18:19], s[0:1]
	s_cbranch_execz .LBB0_21
; %bb.20:
	v_mul_u32_u24_sdwa v20, v63, s20 dst_sel:DWORD dst_unused:UNUSED_PAD src0_sel:WORD_0 src1_sel:DWORD
	v_lshrrev_b32_e32 v20, 21, v20
	v_mul_lo_u16_e32 v20, 33, v20
	v_sub_u16_e32 v52, v63, v20
	v_lshlrev_b32_e32 v36, 6, v52
	global_load_dwordx4 v[20:23], v36, s[8:9] offset:368
	global_load_dwordx4 v[24:27], v36, s[8:9] offset:352
	;; [unrolled: 1-line block ×4, first 2 shown]
	s_waitcnt vmcnt(3)
	v_mul_f64 v[36:37], v[8:9], v[22:23]
	s_waitcnt vmcnt(2)
	v_mul_f64 v[38:39], v[4:5], v[26:27]
	;; [unrolled: 2-line block ×4, first 2 shown]
	v_mul_f64 v[22:23], v[10:11], v[22:23]
	v_mul_f64 v[30:31], v[14:15], v[30:31]
	;; [unrolled: 1-line block ×4, first 2 shown]
	v_fma_f64 v[10:11], v[10:11], v[20:21], -v[36:37]
	v_fma_f64 v[6:7], v[6:7], v[24:25], -v[38:39]
	v_fma_f64 v[14:15], v[14:15], v[28:29], -v[40:41]
	v_fma_f64 v[18:19], v[18:19], v[32:33], -v[42:43]
	v_fma_f64 v[8:9], v[8:9], v[20:21], v[22:23]
	v_fma_f64 v[12:13], v[12:13], v[28:29], v[30:31]
	;; [unrolled: 1-line block ×4, first 2 shown]
	v_add_f64 v[20:21], v[10:11], -v[6:7]
	v_add_f64 v[30:31], v[6:7], -v[10:11]
	;; [unrolled: 1-line block ×3, first 2 shown]
	v_add_f64 v[26:27], v[6:7], v[18:19]
	v_add_f64 v[32:33], v[18:19], -v[14:15]
	v_add_f64 v[34:35], v[10:11], v[14:15]
	v_add_f64 v[42:43], v[4:5], v[16:17]
	;; [unrolled: 1-line block ×4, first 2 shown]
	v_add_f64 v[28:29], v[4:5], -v[16:17]
	v_add_f64 v[38:39], v[8:9], -v[4:5]
	;; [unrolled: 1-line block ×3, first 2 shown]
	v_add_f64 v[4:5], v[0:1], v[4:5]
	v_add_f64 v[24:25], v[8:9], -v[12:13]
	v_add_f64 v[40:41], v[12:13], -v[16:17]
	;; [unrolled: 1-line block ×3, first 2 shown]
	v_add_f64 v[20:21], v[20:21], v[22:23]
	v_fma_f64 v[22:23], v[26:27], -0.5, v[2:3]
	v_add_f64 v[26:27], v[30:31], v[32:33]
	v_fma_f64 v[2:3], v[34:35], -0.5, v[2:3]
	v_fma_f64 v[32:33], v[42:43], -0.5, v[0:1]
	;; [unrolled: 1-line block ×3, first 2 shown]
	v_add_f64 v[44:45], v[10:11], -v[14:15]
	v_add_f64 v[10:11], v[36:37], v[10:11]
	v_add_f64 v[4:5], v[4:5], v[8:9]
	v_add_f64 v[48:49], v[16:17], -v[12:13]
	v_add_f64 v[30:31], v[38:39], v[40:41]
	v_fma_f64 v[8:9], v[24:25], s[16:17], v[22:23]
	v_fma_f64 v[22:23], v[24:25], s[10:11], v[22:23]
	;; [unrolled: 1-line block ×6, first 2 shown]
	v_add_f64 v[10:11], v[10:11], v[14:15]
	v_fma_f64 v[14:15], v[44:45], s[10:11], v[32:33]
	v_fma_f64 v[32:33], v[44:45], s[16:17], v[32:33]
	v_add_f64 v[4:5], v[4:5], v[12:13]
	v_add_f64 v[34:35], v[46:47], v[48:49]
	v_fma_f64 v[12:13], v[28:29], s[14:15], v[22:23]
	v_fma_f64 v[22:23], v[24:25], s[6:7], v[36:37]
	;; [unrolled: 1-line block ×8, first 2 shown]
	v_add_f64 v[2:3], v[10:11], v[18:19]
	v_add_f64 v[0:1], v[4:5], v[16:17]
	v_fma_f64 v[18:19], v[26:27], s[4:5], v[24:25]
	v_fma_f64 v[16:17], v[34:35], s[4:5], v[36:37]
	;; [unrolled: 1-line block ×8, first 2 shown]
	v_lshl_add_u32 v20, v52, 4, 0
	ds_write_b128 v20, v[0:3] offset:26400
	ds_write_b128 v20, v[16:19] offset:26928
	;; [unrolled: 1-line block ×5, first 2 shown]
.LBB0_21:
	s_or_b64 exec, exec, s[18:19]
	s_waitcnt lgkmcnt(0)
	s_barrier
	s_and_saveexec_b64 s[0:1], vcc
	s_cbranch_execz .LBB0_23
; %bb.22:
	v_mul_u32_u24_e32 v0, 10, v62
	v_lshlrev_b32_e32 v0, 4, v0
	global_load_dwordx4 v[4:7], v0, s[8:9] offset:2528
	global_load_dwordx4 v[8:11], v0, s[8:9] offset:2544
	;; [unrolled: 1-line block ×10, first 2 shown]
	ds_read_b128 v[32:35], v65 offset:13200
	ds_read_b128 v[54:57], v65 offset:15840
	ds_read_b128 v[68:71], v68
	ds_read_b128 v[72:75], v65 offset:18480
	ds_read_b128 v[76:79], v65 offset:21120
	;; [unrolled: 1-line block ×3, first 2 shown]
	ds_read_b128 v[0:3], v65
	ds_read_b128 v[84:87], v67
	;; [unrolled: 1-line block ×3, first 2 shown]
	ds_read_b128 v[94:97], v65 offset:23760
	ds_read_b128 v[62:65], v65 offset:26400
	s_mov_b32 s20, 0xfd768dbf
	s_mov_b32 s21, 0xbfd207e7
	;; [unrolled: 1-line block ×26, first 2 shown]
	s_waitcnt vmcnt(9) lgkmcnt(10)
	v_mul_f64 v[36:37], v[6:7], v[34:35]
	s_waitcnt vmcnt(8) lgkmcnt(9)
	v_mul_f64 v[58:59], v[10:11], v[56:57]
	;; [unrolled: 2-line block ×3, first 2 shown]
	v_mul_f64 v[6:7], v[32:33], v[6:7]
	s_waitcnt vmcnt(5)
	v_mul_f64 v[98:99], v[22:23], v[70:71]
	v_mul_f64 v[22:23], v[68:69], v[22:23]
	s_waitcnt vmcnt(4)
	v_mul_f64 v[100:101], v[26:27], v[78:79]
	v_mul_f64 v[103:104], v[76:77], v[26:27]
	s_waitcnt vmcnt(1) lgkmcnt(2)
	v_mul_f64 v[113:114], v[48:49], v[92:93]
	s_waitcnt vmcnt(0) lgkmcnt(0)
	v_mul_f64 v[115:116], v[52:53], v[64:65]
	v_mul_f64 v[105:106], v[30:31], v[86:87]
	;; [unrolled: 1-line block ×5, first 2 shown]
	v_fma_f64 v[48:49], v[12:13], v[80:81], v[66:67]
	v_fma_f64 v[66:67], v[20:21], v[68:69], v[98:99]
	v_fma_f64 v[70:71], v[20:21], v[70:71], -v[22:23]
	v_fma_f64 v[90:91], v[46:47], v[90:91], v[113:114]
	v_fma_f64 v[20:21], v[50:51], v[62:63], v[115:116]
	v_mul_f64 v[10:11], v[54:55], v[10:11]
	v_mul_f64 v[14:15], v[80:81], v[14:15]
	;; [unrolled: 1-line block ×4, first 2 shown]
	v_fma_f64 v[42:43], v[4:5], v[32:33], v[36:37]
	v_fma_f64 v[26:27], v[24:25], v[76:77], v[100:101]
	v_fma_f64 v[32:33], v[24:25], v[78:79], -v[103:104]
	v_fma_f64 v[84:85], v[28:29], v[84:85], v[105:106]
	v_fma_f64 v[22:23], v[38:39], v[94:95], v[107:108]
	v_fma_f64 v[92:93], v[46:47], v[92:93], -v[117:118]
	v_fma_f64 v[24:25], v[50:51], v[64:65], -v[52:53]
	v_add_f64 v[100:101], v[90:91], -v[20:21]
	v_mul_f64 v[88:89], v[18:19], v[74:75]
	v_fma_f64 v[44:45], v[4:5], v[34:35], -v[6:7]
	v_fma_f64 v[34:35], v[8:9], v[54:55], v[58:59]
	v_fma_f64 v[40:41], v[8:9], v[56:57], -v[10:11]
	v_fma_f64 v[54:55], v[12:13], v[82:83], -v[14:15]
	;; [unrolled: 1-line block ×4, first 2 shown]
	v_add_f64 v[98:99], v[84:85], -v[22:23]
	v_add_f64 v[62:63], v[92:93], v[24:25]
	v_add_f64 v[82:83], v[92:93], -v[24:25]
	v_mul_f64 v[8:9], v[100:101], s[20:21]
	v_mul_f64 v[18:19], v[72:73], v[18:19]
	v_fma_f64 v[30:31], v[16:17], v[72:73], v[88:89]
	v_add_f64 v[96:97], v[66:67], -v[26:27]
	v_add_f64 v[56:57], v[86:87], v[28:29]
	v_add_f64 v[80:81], v[86:87], -v[28:29]
	v_add_f64 v[78:79], v[90:91], v[20:21]
	v_mul_f64 v[10:11], v[82:83], s[20:21]
	v_mul_f64 v[14:15], v[98:99], s[22:23]
	v_fma_f64 v[107:108], v[62:63], s[18:19], v[8:9]
	v_fma_f64 v[36:37], v[16:17], v[74:75], -v[18:19]
	v_add_f64 v[94:95], v[48:49], -v[30:31]
	v_add_f64 v[52:53], v[70:71], v[32:33]
	v_add_f64 v[76:77], v[70:71], -v[32:33]
	v_add_f64 v[74:75], v[84:85], v[22:23]
	v_mul_f64 v[12:13], v[96:97], s[14:15]
	v_mul_f64 v[18:19], v[80:81], s[22:23]
	v_fma_f64 v[109:110], v[78:79], s[18:19], -v[10:11]
	v_fma_f64 v[8:9], v[62:63], s[18:19], -v[8:9]
	v_fma_f64 v[10:11], v[78:79], s[18:19], v[10:11]
	v_fma_f64 v[111:112], v[56:57], s[16:17], v[14:15]
	v_add_f64 v[107:108], v[2:3], v[107:108]
	v_add_f64 v[88:89], v[42:43], -v[34:35]
	v_add_f64 v[46:47], v[54:55], v[36:37]
	v_add_f64 v[68:69], v[54:55], -v[36:37]
	v_add_f64 v[64:65], v[66:67], v[26:27]
	v_mul_f64 v[6:7], v[94:95], s[10:11]
	v_mul_f64 v[105:106], v[76:77], s[14:15]
	v_fma_f64 v[113:114], v[74:75], s[16:17], -v[18:19]
	v_fma_f64 v[14:15], v[56:57], s[16:17], -v[14:15]
	v_fma_f64 v[18:19], v[74:75], s[16:17], v[18:19]
	v_add_f64 v[109:110], v[0:1], v[109:110]
	v_add_f64 v[8:9], v[2:3], v[8:9]
	;; [unrolled: 1-line block ×3, first 2 shown]
	v_fma_f64 v[115:116], v[52:53], s[4:5], v[12:13]
	v_add_f64 v[107:108], v[111:112], v[107:108]
	v_add_f64 v[38:39], v[44:45], v[40:41]
	v_add_f64 v[72:73], v[44:45], -v[40:41]
	v_add_f64 v[58:59], v[48:49], v[30:31]
	v_mul_f64 v[4:5], v[88:89], s[8:9]
	v_mul_f64 v[103:104], v[68:69], s[10:11]
	v_fma_f64 v[117:118], v[64:65], s[4:5], -v[105:106]
	v_fma_f64 v[12:13], v[52:53], s[4:5], -v[12:13]
	v_fma_f64 v[105:106], v[64:65], s[4:5], v[105:106]
	v_add_f64 v[109:110], v[113:114], v[109:110]
	v_add_f64 v[8:9], v[14:15], v[8:9]
	;; [unrolled: 1-line block ×3, first 2 shown]
	v_fma_f64 v[14:15], v[46:47], s[6:7], v[6:7]
	v_add_f64 v[107:108], v[115:116], v[107:108]
	v_add_f64 v[50:51], v[42:43], v[34:35]
	v_mul_f64 v[16:17], v[72:73], s[8:9]
	v_fma_f64 v[18:19], v[58:59], s[6:7], -v[103:104]
	v_fma_f64 v[6:7], v[46:47], s[6:7], -v[6:7]
	v_fma_f64 v[103:104], v[58:59], s[6:7], v[103:104]
	v_add_f64 v[109:110], v[117:118], v[109:110]
	v_add_f64 v[8:9], v[12:13], v[8:9]
	;; [unrolled: 1-line block ×3, first 2 shown]
	v_fma_f64 v[12:13], v[38:39], s[0:1], v[4:5]
	v_fma_f64 v[111:112], v[38:39], s[0:1], -v[4:5]
	v_add_f64 v[4:5], v[14:15], v[107:108]
	v_fma_f64 v[105:106], v[50:51], s[0:1], -v[16:17]
	v_fma_f64 v[16:17], v[50:51], s[0:1], v[16:17]
	v_add_f64 v[14:15], v[18:19], v[109:110]
	v_add_f64 v[8:9], v[6:7], v[8:9]
	;; [unrolled: 1-line block ×3, first 2 shown]
	v_mul_f64 v[107:108], v[100:101], s[14:15]
	v_mul_f64 v[115:116], v[76:77], s[24:25]
	v_add_f64 v[6:7], v[12:13], v[4:5]
	v_mul_f64 v[12:13], v[82:83], s[14:15]
	v_mul_f64 v[119:120], v[94:95], s[20:21]
	v_add_f64 v[4:5], v[105:106], v[14:15]
	v_add_f64 v[10:11], v[111:112], v[8:9]
	;; [unrolled: 1-line block ×3, first 2 shown]
	v_mul_f64 v[16:17], v[98:99], s[26:27]
	v_fma_f64 v[18:19], v[62:63], s[4:5], v[107:108]
	v_mul_f64 v[105:106], v[80:81], s[26:27]
	v_fma_f64 v[109:110], v[78:79], s[4:5], -v[12:13]
	v_fma_f64 v[107:108], v[62:63], s[4:5], -v[107:108]
	v_mul_f64 v[111:112], v[96:97], s[24:25]
	v_fma_f64 v[12:13], v[78:79], s[4:5], v[12:13]
	v_mul_f64 v[103:104], v[88:89], s[10:11]
	v_fma_f64 v[113:114], v[56:57], s[0:1], v[16:17]
	v_add_f64 v[18:19], v[2:3], v[18:19]
	v_fma_f64 v[117:118], v[74:75], s[0:1], -v[105:106]
	v_add_f64 v[109:110], v[0:1], v[109:110]
	v_fma_f64 v[16:17], v[56:57], s[0:1], -v[16:17]
	v_add_f64 v[107:108], v[2:3], v[107:108]
	v_fma_f64 v[121:122], v[52:53], s[16:17], v[111:112]
	v_fma_f64 v[111:112], v[52:53], s[16:17], -v[111:112]
	v_fma_f64 v[105:106], v[74:75], s[0:1], v[105:106]
	v_add_f64 v[18:19], v[113:114], v[18:19]
	v_mul_f64 v[113:114], v[68:69], s[20:21]
	v_add_f64 v[109:110], v[117:118], v[109:110]
	v_fma_f64 v[117:118], v[64:65], s[16:17], -v[115:116]
	v_add_f64 v[16:17], v[16:17], v[107:108]
	v_fma_f64 v[107:108], v[46:47], s[18:19], v[119:120]
	v_add_f64 v[12:13], v[0:1], v[12:13]
	v_fma_f64 v[119:120], v[46:47], s[18:19], -v[119:120]
	v_add_f64 v[18:19], v[121:122], v[18:19]
	v_fma_f64 v[14:15], v[38:39], s[6:7], v[103:104]
	v_fma_f64 v[121:122], v[58:59], s[18:19], -v[113:114]
	v_add_f64 v[109:110], v[117:118], v[109:110]
	v_mul_f64 v[117:118], v[100:101], s[8:9]
	v_add_f64 v[16:17], v[111:112], v[16:17]
	v_fma_f64 v[111:112], v[64:65], s[16:17], v[115:116]
	v_add_f64 v[12:13], v[105:106], v[12:13]
	v_mul_f64 v[105:106], v[98:99], s[28:29]
	v_add_f64 v[18:19], v[107:108], v[18:19]
	v_mul_f64 v[107:108], v[72:73], s[10:11]
	v_add_f64 v[109:110], v[121:122], v[109:110]
	v_fma_f64 v[115:116], v[62:63], s[0:1], v[117:118]
	v_add_f64 v[16:17], v[119:120], v[16:17]
	v_mul_f64 v[119:120], v[82:83], s[8:9]
	v_fma_f64 v[113:114], v[58:59], s[18:19], v[113:114]
	v_add_f64 v[12:13], v[111:112], v[12:13]
	v_fma_f64 v[111:112], v[56:57], s[18:19], v[105:106]
	v_mul_f64 v[121:122], v[96:97], s[10:11]
	v_fma_f64 v[123:124], v[50:51], s[6:7], -v[107:108]
	v_add_f64 v[115:116], v[2:3], v[115:116]
	v_add_f64 v[14:15], v[14:15], v[18:19]
	v_fma_f64 v[18:19], v[38:39], s[6:7], -v[103:104]
	v_fma_f64 v[103:104], v[50:51], s[6:7], v[107:108]
	v_mul_f64 v[107:108], v[80:81], s[28:29]
	v_fma_f64 v[125:126], v[78:79], s[0:1], -v[119:120]
	v_mul_f64 v[127:128], v[94:95], s[24:25]
	v_add_f64 v[113:114], v[113:114], v[12:13]
	v_add_f64 v[111:112], v[111:112], v[115:116]
	v_fma_f64 v[115:116], v[52:53], s[6:7], v[121:122]
	v_add_f64 v[12:13], v[123:124], v[109:110]
	v_fma_f64 v[109:110], v[62:63], s[0:1], -v[117:118]
	v_fma_f64 v[117:118], v[74:75], s[18:19], -v[107:108]
	v_add_f64 v[123:124], v[0:1], v[125:126]
	v_mul_f64 v[125:126], v[76:77], s[10:11]
	v_fma_f64 v[129:130], v[46:47], s[16:17], v[127:128]
	v_add_f64 v[18:19], v[18:19], v[16:17]
	v_add_f64 v[111:112], v[115:116], v[111:112]
	v_fma_f64 v[105:106], v[56:57], s[18:19], -v[105:106]
	v_add_f64 v[109:110], v[2:3], v[109:110]
	v_fma_f64 v[115:116], v[78:79], s[0:1], v[119:120]
	v_add_f64 v[117:118], v[117:118], v[123:124]
	v_fma_f64 v[119:120], v[64:65], s[6:7], -v[125:126]
	v_add_f64 v[16:17], v[103:104], v[113:114]
	v_mul_f64 v[113:114], v[68:69], s[24:25]
	v_add_f64 v[103:104], v[129:130], v[111:112]
	v_fma_f64 v[111:112], v[52:53], s[6:7], -v[121:122]
	v_add_f64 v[105:106], v[105:106], v[109:110]
	v_add_f64 v[109:110], v[0:1], v[115:116]
	s_mov_b32 s11, 0xbfed1bb4
	v_add_f64 v[115:116], v[119:120], v[117:118]
	v_mul_f64 v[119:120], v[100:101], s[10:11]
	v_fma_f64 v[121:122], v[58:59], s[16:17], -v[113:114]
	v_fma_f64 v[107:108], v[74:75], s[18:19], v[107:108]
	v_add_f64 v[92:93], v[2:3], v[92:93]
	v_add_f64 v[90:91], v[90:91], v[0:1]
	v_mul_f64 v[117:118], v[88:89], s[14:15]
	v_add_f64 v[105:106], v[111:112], v[105:106]
	v_fma_f64 v[111:112], v[64:65], s[6:7], v[125:126]
	v_fma_f64 v[123:124], v[46:47], s[16:17], -v[127:128]
	v_add_f64 v[115:116], v[121:122], v[115:116]
	v_mul_f64 v[121:122], v[82:83], s[10:11]
	v_mul_f64 v[125:126], v[98:99], s[14:15]
	v_fma_f64 v[127:128], v[62:63], s[6:7], v[119:120]
	v_add_f64 v[107:108], v[107:108], v[109:110]
	v_mul_f64 v[109:110], v[72:73], s[14:15]
	v_mul_f64 v[137:138], v[80:81], s[14:15]
	v_add_f64 v[92:93], v[86:87], v[92:93]
	v_add_f64 v[90:91], v[84:85], v[90:91]
	v_fma_f64 v[135:136], v[78:79], s[6:7], -v[121:122]
	v_fma_f64 v[129:130], v[38:39], s[4:5], v[117:118]
	v_mul_f64 v[131:132], v[96:97], s[28:29]
	v_fma_f64 v[133:134], v[56:57], s[4:5], v[125:126]
	v_add_f64 v[127:128], v[2:3], v[127:128]
	v_add_f64 v[107:108], v[111:112], v[107:108]
	v_fma_f64 v[111:112], v[50:51], s[4:5], -v[109:110]
	v_add_f64 v[123:124], v[123:124], v[105:106]
	v_fma_f64 v[117:118], v[38:39], s[4:5], -v[117:118]
	;; [unrolled: 2-line block ×3, first 2 shown]
	v_mul_f64 v[143:144], v[76:77], s[28:29]
	v_add_f64 v[70:71], v[70:71], v[92:93]
	v_add_f64 v[92:93], v[66:67], v[90:91]
	v_fma_f64 v[113:114], v[58:59], s[16:17], v[113:114]
	v_add_f64 v[105:106], v[129:130], v[103:104]
	v_fma_f64 v[129:130], v[52:53], s[18:19], v[131:132]
	v_add_f64 v[127:128], v[133:134], v[127:128]
	v_mul_f64 v[133:134], v[94:95], s[26:27]
	v_fma_f64 v[141:142], v[50:51], s[4:5], v[109:110]
	v_add_f64 v[103:104], v[111:112], v[115:116]
	v_add_f64 v[109:110], v[117:118], v[123:124]
	;; [unrolled: 1-line block ×3, first 2 shown]
	v_fma_f64 v[117:118], v[62:63], s[6:7], -v[119:120]
	v_fma_f64 v[119:120], v[64:65], s[18:19], -v[143:144]
	v_mul_f64 v[100:101], v[100:101], s[24:25]
	v_add_f64 v[54:55], v[54:55], v[70:71]
	v_add_f64 v[48:49], v[48:49], v[92:93]
	;; [unrolled: 1-line block ×4, first 2 shown]
	v_fma_f64 v[113:114], v[46:47], s[0:1], v[133:134]
	v_mul_f64 v[82:83], v[82:83], s[24:25]
	v_add_f64 v[115:116], v[119:120], v[115:116]
	v_fma_f64 v[119:120], v[62:63], s[16:17], v[100:101]
	v_mul_f64 v[98:99], v[98:99], s[10:11]
	v_fma_f64 v[62:63], v[62:63], s[16:17], -v[100:101]
	v_add_f64 v[44:45], v[44:45], v[54:55]
	v_add_f64 v[42:43], v[42:43], v[48:49]
	;; [unrolled: 1-line block ×3, first 2 shown]
	v_fma_f64 v[113:114], v[78:79], s[6:7], v[121:122]
	v_fma_f64 v[121:122], v[56:57], s[4:5], -v[125:126]
	v_add_f64 v[117:118], v[2:3], v[117:118]
	v_mul_f64 v[70:71], v[80:81], s[10:11]
	v_fma_f64 v[80:81], v[78:79], s[16:17], -v[82:83]
	v_fma_f64 v[78:79], v[78:79], s[16:17], v[82:83]
	v_add_f64 v[119:120], v[2:3], v[119:120]
	v_mul_f64 v[96:97], v[96:97], s[8:9]
	v_fma_f64 v[48:49], v[56:57], s[6:7], -v[98:99]
	v_add_f64 v[2:3], v[2:3], v[62:63]
	v_add_f64 v[40:41], v[40:41], v[44:45]
	;; [unrolled: 1-line block ×5, first 2 shown]
	v_fma_f64 v[121:122], v[52:53], s[18:19], -v[131:132]
	v_fma_f64 v[131:132], v[56:57], s[6:7], v[98:99]
	v_mul_f64 v[76:77], v[76:77], s[8:9]
	v_add_f64 v[80:81], v[0:1], v[80:81]
	v_fma_f64 v[56:57], v[74:75], s[6:7], v[70:71]
	v_add_f64 v[0:1], v[0:1], v[78:79]
	v_mul_f64 v[123:124], v[68:69], s[26:27]
	v_mul_f64 v[94:95], v[94:95], s[14:15]
	v_fma_f64 v[42:43], v[52:53], s[0:1], -v[96:97]
	v_add_f64 v[2:3], v[48:49], v[2:3]
	v_add_f64 v[36:37], v[36:37], v[40:41]
	;; [unrolled: 1-line block ×3, first 2 shown]
	v_mul_f64 v[68:69], v[68:69], s[14:15]
	v_fma_f64 v[48:49], v[64:65], s[0:1], v[76:77]
	v_add_f64 v[0:1], v[56:57], v[0:1]
	v_fma_f64 v[125:126], v[58:59], s[0:1], -v[123:124]
	v_fma_f64 v[127:128], v[74:75], s[4:5], v[137:138]
	v_add_f64 v[119:120], v[131:132], v[119:120]
	v_fma_f64 v[131:132], v[46:47], s[0:1], -v[133:134]
	v_mul_f64 v[133:134], v[88:89], s[20:21]
	v_fma_f64 v[34:35], v[46:47], s[4:5], -v[94:95]
	v_add_f64 v[2:3], v[42:43], v[2:3]
	v_add_f64 v[32:33], v[32:33], v[36:37]
	;; [unrolled: 1-line block ×3, first 2 shown]
	v_mul_f64 v[135:136], v[72:73], s[22:23]
	v_mul_f64 v[72:73], v[72:73], s[20:21]
	v_fma_f64 v[42:43], v[58:59], s[4:5], v[68:69]
	v_add_f64 v[0:1], v[48:49], v[0:1]
	v_add_f64 v[115:116], v[125:126], v[115:116]
	;; [unrolled: 1-line block ×3, first 2 shown]
	v_fma_f64 v[125:126], v[64:65], s[18:19], v[143:144]
	v_fma_f64 v[30:31], v[38:39], s[18:19], -v[133:134]
	v_add_f64 v[2:3], v[34:35], v[2:3]
	v_add_f64 v[28:29], v[28:29], v[32:33]
	;; [unrolled: 1-line block ×4, first 2 shown]
	v_fma_f64 v[121:122], v[52:53], s[0:1], v[96:97]
	v_fma_f64 v[123:124], v[58:59], s[0:1], v[123:124]
	v_fma_f64 v[44:45], v[64:65], s[0:1], -v[76:77]
	v_mad_u64_u32 v[32:33], s[0:1], s2, v102, 0
	v_fma_f64 v[34:35], v[50:51], s[18:19], v[72:73]
	v_add_f64 v[0:1], v[42:43], v[0:1]
	v_mul_f64 v[129:130], v[88:89], s[22:23]
	v_add_f64 v[113:114], v[125:126], v[113:114]
	v_mov_b32_e32 v22, v33
	v_add_f64 v[2:3], v[30:31], v[2:3]
	v_mad_u64_u32 v[30:31], s[0:1], s3, v102, v[22:23]
	v_add_f64 v[22:23], v[24:25], v[28:29]
	v_add_u32_e32 v28, 0xa5, v102
	v_add_f64 v[20:21], v[20:21], v[26:27]
	v_mad_u64_u32 v[26:27], s[0:1], s2, v28, 0
	v_mov_b32_e32 v33, v30
	v_mov_b32_e32 v24, s13
	v_add_co_u32_e32 v30, vcc, s12, v60
	v_add_f64 v[0:1], v[34:35], v[0:1]
	v_addc_co_u32_e32 v31, vcc, v24, v61, vcc
	v_lshlrev_b64 v[24:25], 4, v[32:33]
	v_mad_u64_u32 v[27:28], s[0:1], s3, v28, v[27:28]
	v_add_f64 v[88:89], v[131:132], v[117:118]
	v_add_f64 v[113:114], v[123:124], v[113:114]
	v_fma_f64 v[117:118], v[38:39], s[16:17], -v[129:130]
	v_fma_f64 v[123:124], v[50:51], s[16:17], v[135:136]
	v_add_co_u32_e32 v24, vcc, v30, v24
	v_addc_co_u32_e32 v25, vcc, v31, v25, vcc
	v_add_u32_e32 v32, 0x14a, v102
	v_mad_u64_u32 v[28:29], s[0:1], s2, v32, 0
	global_store_dwordx4 v[24:25], v[20:23], off
	v_add_f64 v[90:91], v[117:118], v[88:89]
	v_lshlrev_b64 v[20:21], 4, v[26:27]
	v_mov_b32_e32 v22, v29
	v_add_co_u32_e32 v20, vcc, v30, v20
	v_addc_co_u32_e32 v21, vcc, v31, v21, vcc
	global_store_dwordx4 v[20:21], v[0:3], off
	v_add_u32_e32 v20, 0x1ef, v102
	v_mad_u64_u32 v[22:23], s[0:1], s3, v32, v[22:23]
	v_mad_u64_u32 v[2:3], s[0:1], s2, v20, 0
	v_add_f64 v[88:89], v[123:124], v[113:114]
	v_mov_b32_e32 v29, v22
	v_mad_u64_u32 v[20:21], s[0:1], s3, v20, v[3:4]
	v_add_u32_e32 v23, 0x294, v102
	v_lshlrev_b64 v[0:1], 4, v[28:29]
	v_mad_u64_u32 v[21:22], s[0:1], s2, v23, 0
	v_add_co_u32_e32 v0, vcc, v30, v0
	v_addc_co_u32_e32 v1, vcc, v31, v1, vcc
	v_mov_b32_e32 v3, v20
	global_store_dwordx4 v[0:1], v[88:91], off
	v_lshlrev_b64 v[0:1], 4, v[2:3]
	v_mov_b32_e32 v2, v22
	v_add_f64 v[107:108], v[141:142], v[107:108]
	v_mad_u64_u32 v[2:3], s[0:1], s3, v23, v[2:3]
	v_add_u32_e32 v20, 0x339, v102
	v_add_co_u32_e32 v0, vcc, v30, v0
	v_mov_b32_e32 v22, v2
	v_mad_u64_u32 v[2:3], s[0:1], s2, v20, 0
	v_addc_co_u32_e32 v1, vcc, v31, v1, vcc
	global_store_dwordx4 v[0:1], v[107:110], off
	v_lshlrev_b64 v[0:1], 4, v[21:22]
	v_mad_u64_u32 v[20:21], s[0:1], s3, v20, v[3:4]
	v_add_u32_e32 v23, 0x3de, v102
	v_mad_u64_u32 v[21:22], s[0:1], s2, v23, 0
	v_fma_f64 v[54:55], v[74:75], s[6:7], -v[70:71]
	v_add_co_u32_e32 v0, vcc, v30, v0
	v_addc_co_u32_e32 v1, vcc, v31, v1, vcc
	v_mov_b32_e32 v3, v20
	global_store_dwordx4 v[0:1], v[16:19], off
	v_lshlrev_b64 v[0:1], 4, v[2:3]
	v_mov_b32_e32 v2, v22
	v_mad_u64_u32 v[2:3], s[0:1], s3, v23, v[2:3]
	v_add_co_u32_e32 v0, vcc, v30, v0
	v_addc_co_u32_e32 v1, vcc, v31, v1, vcc
	global_store_dwordx4 v[0:1], v[8:11], off
	v_mov_b32_e32 v22, v2
	v_add_u32_e32 v8, 0x483, v102
	v_mad_u64_u32 v[2:3], s[0:1], s2, v8, 0
	v_add_f64 v[54:55], v[54:55], v[80:81]
	v_add_u32_e32 v11, 0x528, v102
	v_mad_u64_u32 v[8:9], s[0:1], s3, v8, v[3:4]
	v_lshlrev_b64 v[0:1], 4, v[21:22]
	v_mad_u64_u32 v[9:10], s[0:1], s2, v11, 0
	v_add_co_u32_e32 v0, vcc, v30, v0
	v_addc_co_u32_e32 v1, vcc, v31, v1, vcc
	v_mov_b32_e32 v3, v8
	v_add_f64 v[119:120], v[121:122], v[119:120]
	v_fma_f64 v[121:122], v[46:47], s[4:5], v[94:95]
	v_fma_f64 v[40:41], v[58:59], s[4:5], -v[68:69]
	v_add_f64 v[44:45], v[44:45], v[54:55]
	global_store_dwordx4 v[0:1], v[4:7], off
	v_lshlrev_b64 v[0:1], 4, v[2:3]
	v_mov_b32_e32 v2, v10
	v_mad_u64_u32 v[2:3], s[0:1], s3, v11, v[2:3]
	v_fma_f64 v[127:128], v[38:39], s[16:17], v[129:130]
	v_fma_f64 v[125:126], v[50:51], s[16:17], -v[135:136]
	v_add_u32_e32 v4, 0x5cd, v102
	v_mov_b32_e32 v10, v2
	v_mad_u64_u32 v[2:3], s[0:1], s2, v4, 0
	v_add_f64 v[119:120], v[121:122], v[119:120]
	v_fma_f64 v[121:122], v[38:39], s[18:19], v[133:134]
	v_fma_f64 v[36:37], v[50:51], s[18:19], -v[72:73]
	v_add_f64 v[40:41], v[40:41], v[44:45]
	v_add_co_u32_e32 v0, vcc, v30, v0
	v_addc_co_u32_e32 v1, vcc, v31, v1, vcc
	v_mad_u64_u32 v[3:4], s[0:1], s3, v4, v[3:4]
	v_add_u32_e32 v6, 0x672, v102
	global_store_dwordx4 v[0:1], v[12:15], off
	v_lshlrev_b64 v[0:1], 4, v[9:10]
	v_mad_u64_u32 v[4:5], s[0:1], s2, v6, 0
	v_add_f64 v[86:87], v[127:128], v[111:112]
	v_add_f64 v[84:85], v[125:126], v[115:116]
	v_add_co_u32_e32 v0, vcc, v30, v0
	v_addc_co_u32_e32 v1, vcc, v31, v1, vcc
	global_store_dwordx4 v[0:1], v[103:106], off
	v_lshlrev_b64 v[0:1], 4, v[2:3]
	v_mov_b32_e32 v2, v5
	v_mad_u64_u32 v[2:3], s[0:1], s3, v6, v[2:3]
	v_add_f64 v[66:67], v[121:122], v[119:120]
	v_add_f64 v[64:65], v[36:37], v[40:41]
	v_add_co_u32_e32 v0, vcc, v30, v0
	v_addc_co_u32_e32 v1, vcc, v31, v1, vcc
	v_mov_b32_e32 v5, v2
	global_store_dwordx4 v[0:1], v[84:87], off
	v_lshlrev_b64 v[0:1], 4, v[4:5]
	v_add_co_u32_e32 v0, vcc, v30, v0
	v_addc_co_u32_e32 v1, vcc, v31, v1, vcc
	global_store_dwordx4 v[0:1], v[64:67], off
.LBB0_23:
	s_endpgm
	.section	.rodata,"a",@progbits
	.p2align	6, 0x0
	.amdhsa_kernel fft_rtc_back_len1815_factors_11_3_5_11_wgs_165_tpt_165_dp_ip_CI_sbrr_dirReg
		.amdhsa_group_segment_fixed_size 0
		.amdhsa_private_segment_fixed_size 0
		.amdhsa_kernarg_size 88
		.amdhsa_user_sgpr_count 6
		.amdhsa_user_sgpr_private_segment_buffer 1
		.amdhsa_user_sgpr_dispatch_ptr 0
		.amdhsa_user_sgpr_queue_ptr 0
		.amdhsa_user_sgpr_kernarg_segment_ptr 1
		.amdhsa_user_sgpr_dispatch_id 0
		.amdhsa_user_sgpr_flat_scratch_init 0
		.amdhsa_user_sgpr_private_segment_size 0
		.amdhsa_uses_dynamic_stack 0
		.amdhsa_system_sgpr_private_segment_wavefront_offset 0
		.amdhsa_system_sgpr_workgroup_id_x 1
		.amdhsa_system_sgpr_workgroup_id_y 0
		.amdhsa_system_sgpr_workgroup_id_z 0
		.amdhsa_system_sgpr_workgroup_info 0
		.amdhsa_system_vgpr_workitem_id 0
		.amdhsa_next_free_vgpr 145
		.amdhsa_next_free_sgpr 32
		.amdhsa_reserve_vcc 1
		.amdhsa_reserve_flat_scratch 0
		.amdhsa_float_round_mode_32 0
		.amdhsa_float_round_mode_16_64 0
		.amdhsa_float_denorm_mode_32 3
		.amdhsa_float_denorm_mode_16_64 3
		.amdhsa_dx10_clamp 1
		.amdhsa_ieee_mode 1
		.amdhsa_fp16_overflow 0
		.amdhsa_exception_fp_ieee_invalid_op 0
		.amdhsa_exception_fp_denorm_src 0
		.amdhsa_exception_fp_ieee_div_zero 0
		.amdhsa_exception_fp_ieee_overflow 0
		.amdhsa_exception_fp_ieee_underflow 0
		.amdhsa_exception_fp_ieee_inexact 0
		.amdhsa_exception_int_div_zero 0
	.end_amdhsa_kernel
	.text
.Lfunc_end0:
	.size	fft_rtc_back_len1815_factors_11_3_5_11_wgs_165_tpt_165_dp_ip_CI_sbrr_dirReg, .Lfunc_end0-fft_rtc_back_len1815_factors_11_3_5_11_wgs_165_tpt_165_dp_ip_CI_sbrr_dirReg
                                        ; -- End function
	.section	.AMDGPU.csdata,"",@progbits
; Kernel info:
; codeLenInByte = 11828
; NumSgprs: 36
; NumVgprs: 145
; ScratchSize: 0
; MemoryBound: 1
; FloatMode: 240
; IeeeMode: 1
; LDSByteSize: 0 bytes/workgroup (compile time only)
; SGPRBlocks: 4
; VGPRBlocks: 36
; NumSGPRsForWavesPerEU: 36
; NumVGPRsForWavesPerEU: 145
; Occupancy: 1
; WaveLimiterHint : 1
; COMPUTE_PGM_RSRC2:SCRATCH_EN: 0
; COMPUTE_PGM_RSRC2:USER_SGPR: 6
; COMPUTE_PGM_RSRC2:TRAP_HANDLER: 0
; COMPUTE_PGM_RSRC2:TGID_X_EN: 1
; COMPUTE_PGM_RSRC2:TGID_Y_EN: 0
; COMPUTE_PGM_RSRC2:TGID_Z_EN: 0
; COMPUTE_PGM_RSRC2:TIDIG_COMP_CNT: 0
	.type	__hip_cuid_a6989babbddea36a,@object ; @__hip_cuid_a6989babbddea36a
	.section	.bss,"aw",@nobits
	.globl	__hip_cuid_a6989babbddea36a
__hip_cuid_a6989babbddea36a:
	.byte	0                               ; 0x0
	.size	__hip_cuid_a6989babbddea36a, 1

	.ident	"AMD clang version 19.0.0git (https://github.com/RadeonOpenCompute/llvm-project roc-6.4.0 25133 c7fe45cf4b819c5991fe208aaa96edf142730f1d)"
	.section	".note.GNU-stack","",@progbits
	.addrsig
	.addrsig_sym __hip_cuid_a6989babbddea36a
	.amdgpu_metadata
---
amdhsa.kernels:
  - .args:
      - .actual_access:  read_only
        .address_space:  global
        .offset:         0
        .size:           8
        .value_kind:     global_buffer
      - .offset:         8
        .size:           8
        .value_kind:     by_value
      - .actual_access:  read_only
        .address_space:  global
        .offset:         16
        .size:           8
        .value_kind:     global_buffer
      - .actual_access:  read_only
        .address_space:  global
        .offset:         24
        .size:           8
        .value_kind:     global_buffer
      - .offset:         32
        .size:           8
        .value_kind:     by_value
      - .actual_access:  read_only
        .address_space:  global
        .offset:         40
        .size:           8
        .value_kind:     global_buffer
      - .actual_access:  read_only
        .address_space:  global
        .offset:         48
        .size:           8
        .value_kind:     global_buffer
      - .offset:         56
        .size:           4
        .value_kind:     by_value
      - .actual_access:  read_only
        .address_space:  global
        .offset:         64
        .size:           8
        .value_kind:     global_buffer
      - .actual_access:  read_only
        .address_space:  global
        .offset:         72
        .size:           8
        .value_kind:     global_buffer
      - .address_space:  global
        .offset:         80
        .size:           8
        .value_kind:     global_buffer
    .group_segment_fixed_size: 0
    .kernarg_segment_align: 8
    .kernarg_segment_size: 88
    .language:       OpenCL C
    .language_version:
      - 2
      - 0
    .max_flat_workgroup_size: 165
    .name:           fft_rtc_back_len1815_factors_11_3_5_11_wgs_165_tpt_165_dp_ip_CI_sbrr_dirReg
    .private_segment_fixed_size: 0
    .sgpr_count:     36
    .sgpr_spill_count: 0
    .symbol:         fft_rtc_back_len1815_factors_11_3_5_11_wgs_165_tpt_165_dp_ip_CI_sbrr_dirReg.kd
    .uniform_work_group_size: 1
    .uses_dynamic_stack: false
    .vgpr_count:     145
    .vgpr_spill_count: 0
    .wavefront_size: 64
amdhsa.target:   amdgcn-amd-amdhsa--gfx906
amdhsa.version:
  - 1
  - 2
...

	.end_amdgpu_metadata
